;; amdgpu-corpus repo=ROCm/rocFFT kind=compiled arch=gfx950 opt=O3
	.text
	.amdgcn_target "amdgcn-amd-amdhsa--gfx950"
	.amdhsa_code_object_version 6
	.protected	fft_rtc_fwd_len2700_factors_3_10_10_3_3_wgs_90_tpt_90_halfLds_dp_op_CI_CI_sbrr_dirReg ; -- Begin function fft_rtc_fwd_len2700_factors_3_10_10_3_3_wgs_90_tpt_90_halfLds_dp_op_CI_CI_sbrr_dirReg
	.globl	fft_rtc_fwd_len2700_factors_3_10_10_3_3_wgs_90_tpt_90_halfLds_dp_op_CI_CI_sbrr_dirReg
	.p2align	8
	.type	fft_rtc_fwd_len2700_factors_3_10_10_3_3_wgs_90_tpt_90_halfLds_dp_op_CI_CI_sbrr_dirReg,@function
fft_rtc_fwd_len2700_factors_3_10_10_3_3_wgs_90_tpt_90_halfLds_dp_op_CI_CI_sbrr_dirReg: ; @fft_rtc_fwd_len2700_factors_3_10_10_3_3_wgs_90_tpt_90_halfLds_dp_op_CI_CI_sbrr_dirReg
; %bb.0:
	s_load_dwordx4 s[12:15], s[0:1], 0x18
	s_load_dwordx4 s[8:11], s[0:1], 0x0
	;; [unrolled: 1-line block ×3, first 2 shown]
	v_mul_u32_u24_e32 v1, 0x2d9, v0
	v_add_u32_sdwa v6, s2, v1 dst_sel:DWORD dst_unused:UNUSED_PAD src0_sel:DWORD src1_sel:WORD_1
	s_waitcnt lgkmcnt(0)
	s_load_dwordx2 s[18:19], s[12:13], 0x0
	s_load_dwordx2 s[16:17], s[14:15], 0x0
	v_mov_b32_e32 v2, 0
	v_cmp_lt_u64_e64 s[2:3], s[10:11], 2
	v_mov_b32_e32 v7, v2
	s_and_b64 vcc, exec, s[2:3]
	v_mov_b64_e32 v[4:5], 0
	s_cbranch_vccnz .LBB0_8
; %bb.1:
	s_load_dwordx2 s[2:3], s[0:1], 0x10
	s_add_u32 s20, s14, 8
	s_addc_u32 s21, s15, 0
	s_add_u32 s22, s12, 8
	s_addc_u32 s23, s13, 0
	s_waitcnt lgkmcnt(0)
	s_add_u32 s24, s2, 8
	v_mov_b64_e32 v[4:5], 0
	s_addc_u32 s25, s3, 0
	s_mov_b64 s[26:27], 1
	v_mov_b64_e32 v[156:157], v[4:5]
.LBB0_2:                                ; =>This Inner Loop Header: Depth=1
	s_load_dwordx2 s[28:29], s[24:25], 0x0
                                        ; implicit-def: $vgpr158_vgpr159
	s_waitcnt lgkmcnt(0)
	v_or_b32_e32 v3, s29, v7
	v_cmp_ne_u64_e32 vcc, 0, v[2:3]
	s_and_saveexec_b64 s[2:3], vcc
	s_xor_b64 s[30:31], exec, s[2:3]
	s_cbranch_execz .LBB0_4
; %bb.3:                                ;   in Loop: Header=BB0_2 Depth=1
	v_cvt_f32_u32_e32 v1, s28
	v_cvt_f32_u32_e32 v3, s29
	s_sub_u32 s2, 0, s28
	s_subb_u32 s3, 0, s29
	v_fmac_f32_e32 v1, 0x4f800000, v3
	v_rcp_f32_e32 v1, v1
	s_nop 0
	v_mul_f32_e32 v1, 0x5f7ffffc, v1
	v_mul_f32_e32 v3, 0x2f800000, v1
	v_trunc_f32_e32 v3, v3
	v_fmac_f32_e32 v1, 0xcf800000, v3
	v_cvt_u32_f32_e32 v3, v3
	v_cvt_u32_f32_e32 v1, v1
	v_mul_lo_u32 v8, s2, v3
	v_mul_hi_u32 v10, s2, v1
	v_mul_lo_u32 v9, s3, v1
	v_add_u32_e32 v10, v10, v8
	v_mul_lo_u32 v12, s2, v1
	v_add_u32_e32 v13, v10, v9
	v_mul_hi_u32 v8, v1, v12
	v_mul_hi_u32 v11, v1, v13
	v_mul_lo_u32 v10, v1, v13
	v_mov_b32_e32 v9, v2
	v_lshl_add_u64 v[8:9], v[8:9], 0, v[10:11]
	v_mul_hi_u32 v11, v3, v12
	v_mul_lo_u32 v12, v3, v12
	v_add_co_u32_e32 v8, vcc, v8, v12
	v_mul_hi_u32 v10, v3, v13
	s_nop 0
	v_addc_co_u32_e32 v8, vcc, v9, v11, vcc
	v_mov_b32_e32 v9, v2
	s_nop 0
	v_addc_co_u32_e32 v11, vcc, 0, v10, vcc
	v_mul_lo_u32 v10, v3, v13
	v_lshl_add_u64 v[8:9], v[8:9], 0, v[10:11]
	v_add_co_u32_e32 v1, vcc, v1, v8
	v_mul_lo_u32 v10, s2, v1
	s_nop 0
	v_addc_co_u32_e32 v3, vcc, v3, v9, vcc
	v_mul_lo_u32 v8, s2, v3
	v_mul_hi_u32 v9, s2, v1
	v_add_u32_e32 v8, v9, v8
	v_mul_lo_u32 v9, s3, v1
	v_add_u32_e32 v12, v8, v9
	v_mul_hi_u32 v14, v3, v10
	v_mul_lo_u32 v15, v3, v10
	v_mul_hi_u32 v9, v1, v12
	v_mul_lo_u32 v8, v1, v12
	v_mul_hi_u32 v10, v1, v10
	v_mov_b32_e32 v11, v2
	v_lshl_add_u64 v[8:9], v[10:11], 0, v[8:9]
	v_add_co_u32_e32 v8, vcc, v8, v15
	v_mul_hi_u32 v13, v3, v12
	s_nop 0
	v_addc_co_u32_e32 v8, vcc, v9, v14, vcc
	v_mul_lo_u32 v10, v3, v12
	s_nop 0
	v_addc_co_u32_e32 v11, vcc, 0, v13, vcc
	v_mov_b32_e32 v9, v2
	v_lshl_add_u64 v[8:9], v[8:9], 0, v[10:11]
	v_add_co_u32_e32 v1, vcc, v1, v8
	v_mul_hi_u32 v10, v6, v1
	s_nop 0
	v_addc_co_u32_e32 v3, vcc, v3, v9, vcc
	v_mad_u64_u32 v[8:9], s[2:3], v6, v3, 0
	v_mov_b32_e32 v11, v2
	v_lshl_add_u64 v[8:9], v[10:11], 0, v[8:9]
	v_mad_u64_u32 v[12:13], s[2:3], v7, v1, 0
	v_add_co_u32_e32 v1, vcc, v8, v12
	v_mad_u64_u32 v[10:11], s[2:3], v7, v3, 0
	s_nop 0
	v_addc_co_u32_e32 v8, vcc, v9, v13, vcc
	v_mov_b32_e32 v9, v2
	s_nop 0
	v_addc_co_u32_e32 v11, vcc, 0, v11, vcc
	v_lshl_add_u64 v[8:9], v[8:9], 0, v[10:11]
	v_mul_lo_u32 v1, s29, v8
	v_mul_lo_u32 v3, s28, v9
	v_mad_u64_u32 v[10:11], s[2:3], s28, v8, 0
	v_add3_u32 v1, v11, v3, v1
	v_sub_u32_e32 v3, v7, v1
	v_mov_b32_e32 v11, s29
	v_sub_co_u32_e32 v14, vcc, v6, v10
	v_lshl_add_u64 v[12:13], v[8:9], 0, 1
	s_nop 0
	v_subb_co_u32_e64 v3, s[2:3], v3, v11, vcc
	v_subrev_co_u32_e64 v10, s[2:3], s28, v14
	v_subb_co_u32_e32 v1, vcc, v7, v1, vcc
	s_nop 0
	v_subbrev_co_u32_e64 v3, s[2:3], 0, v3, s[2:3]
	v_cmp_le_u32_e64 s[2:3], s29, v3
	v_cmp_le_u32_e32 vcc, s29, v1
	s_nop 0
	v_cndmask_b32_e64 v11, 0, -1, s[2:3]
	v_cmp_le_u32_e64 s[2:3], s28, v10
	s_nop 1
	v_cndmask_b32_e64 v10, 0, -1, s[2:3]
	v_cmp_eq_u32_e64 s[2:3], s29, v3
	s_nop 1
	v_cndmask_b32_e64 v3, v11, v10, s[2:3]
	v_lshl_add_u64 v[10:11], v[8:9], 0, 2
	v_cmp_ne_u32_e64 s[2:3], 0, v3
	s_nop 1
	v_cndmask_b32_e64 v3, v13, v11, s[2:3]
	v_cndmask_b32_e64 v11, 0, -1, vcc
	v_cmp_le_u32_e32 vcc, s28, v14
	s_nop 1
	v_cndmask_b32_e64 v13, 0, -1, vcc
	v_cmp_eq_u32_e32 vcc, s29, v1
	s_nop 1
	v_cndmask_b32_e32 v1, v11, v13, vcc
	v_cmp_ne_u32_e32 vcc, 0, v1
	v_cndmask_b32_e64 v1, v12, v10, s[2:3]
	s_nop 0
	v_cndmask_b32_e32 v159, v9, v3, vcc
	v_cndmask_b32_e32 v158, v8, v1, vcc
.LBB0_4:                                ;   in Loop: Header=BB0_2 Depth=1
	s_andn2_saveexec_b64 s[2:3], s[30:31]
	s_cbranch_execz .LBB0_6
; %bb.5:                                ;   in Loop: Header=BB0_2 Depth=1
	v_cvt_f32_u32_e32 v1, s28
	s_sub_i32 s30, 0, s28
	v_mov_b32_e32 v159, v2
	v_rcp_iflag_f32_e32 v1, v1
	s_nop 0
	v_mul_f32_e32 v1, 0x4f7ffffe, v1
	v_cvt_u32_f32_e32 v1, v1
	v_mul_lo_u32 v3, s30, v1
	v_mul_hi_u32 v3, v1, v3
	v_add_u32_e32 v1, v1, v3
	v_mul_hi_u32 v1, v6, v1
	v_mul_lo_u32 v3, v1, s28
	v_sub_u32_e32 v3, v6, v3
	v_add_u32_e32 v8, 1, v1
	v_subrev_u32_e32 v9, s28, v3
	v_cmp_le_u32_e32 vcc, s28, v3
	s_nop 1
	v_cndmask_b32_e32 v3, v3, v9, vcc
	v_cndmask_b32_e32 v1, v1, v8, vcc
	v_add_u32_e32 v8, 1, v1
	v_cmp_le_u32_e32 vcc, s28, v3
	s_nop 1
	v_cndmask_b32_e32 v158, v1, v8, vcc
.LBB0_6:                                ;   in Loop: Header=BB0_2 Depth=1
	s_or_b64 exec, exec, s[2:3]
	v_mad_u64_u32 v[8:9], s[2:3], v158, s28, 0
	s_load_dwordx2 s[2:3], s[22:23], 0x0
	v_mul_lo_u32 v1, v159, s28
	v_mul_lo_u32 v3, v158, s29
	s_load_dwordx2 s[28:29], s[20:21], 0x0
	s_add_u32 s26, s26, 1
	v_add3_u32 v1, v9, v3, v1
	v_sub_co_u32_e32 v3, vcc, v6, v8
	s_addc_u32 s27, s27, 0
	s_nop 0
	v_subb_co_u32_e32 v1, vcc, v7, v1, vcc
	s_add_u32 s20, s20, 8
	s_waitcnt lgkmcnt(0)
	v_mul_lo_u32 v6, s2, v1
	v_mul_lo_u32 v7, s3, v3
	v_mad_u64_u32 v[4:5], s[2:3], s2, v3, v[4:5]
	s_addc_u32 s21, s21, 0
	v_add3_u32 v5, v7, v5, v6
	v_mul_lo_u32 v1, s28, v1
	v_mul_lo_u32 v6, s29, v3
	v_mad_u64_u32 v[156:157], s[2:3], s28, v3, v[156:157]
	s_add_u32 s22, s22, 8
	v_add3_u32 v157, v6, v157, v1
	s_addc_u32 s23, s23, 0
	v_mov_b64_e32 v[6:7], s[10:11]
	s_add_u32 s24, s24, 8
	v_cmp_ge_u64_e32 vcc, s[26:27], v[6:7]
	s_addc_u32 s25, s25, 0
	s_cbranch_vccnz .LBB0_9
; %bb.7:                                ;   in Loop: Header=BB0_2 Depth=1
	v_mov_b64_e32 v[6:7], v[158:159]
	s_branch .LBB0_2
.LBB0_8:
	v_mov_b64_e32 v[156:157], v[4:5]
	v_mov_b64_e32 v[158:159], v[6:7]
.LBB0_9:
	s_load_dwordx2 s[0:1], s[0:1], 0x28
	s_lshl_b64 s[2:3], s[10:11], 3
	s_add_u32 s10, s14, s2
	s_addc_u32 s11, s15, s3
                                        ; implicit-def: $vgpr170
                                        ; implicit-def: $vgpr191
                                        ; implicit-def: $vgpr192
                                        ; implicit-def: $vgpr171
                                        ; implicit-def: $vgpr172
                                        ; implicit-def: $vgpr173
                                        ; implicit-def: $vgpr174
                                        ; implicit-def: $vgpr175
                                        ; implicit-def: $vgpr176
                                        ; implicit-def: $vgpr179
	s_waitcnt lgkmcnt(0)
	v_cmp_gt_u64_e32 vcc, s[0:1], v[158:159]
	v_cmp_le_u64_e64 s[0:1], s[0:1], v[158:159]
	s_and_saveexec_b64 s[14:15], s[0:1]
	s_xor_b64 s[0:1], exec, s[14:15]
	s_cbranch_execz .LBB0_11
; %bb.10:
	s_mov_b32 s14, 0x2d82d83
	v_mul_hi_u32 v1, v0, s14
	v_mul_u32_u24_e32 v1, 0x5a, v1
	v_sub_u32_e32 v170, v0, v1
	v_add_u32_e32 v191, 0x5a, v170
	v_add_u32_e32 v192, 0xb4, v170
	;; [unrolled: 1-line block ×9, first 2 shown]
                                        ; implicit-def: $vgpr0
                                        ; implicit-def: $vgpr4_vgpr5
.LBB0_11:
	s_or_saveexec_b64 s[0:1], s[0:1]
                                        ; implicit-def: $vgpr82_vgpr83
                                        ; implicit-def: $vgpr90_vgpr91
                                        ; implicit-def: $vgpr2_vgpr3
                                        ; implicit-def: $vgpr106_vgpr107
                                        ; implicit-def: $vgpr114_vgpr115
                                        ; implicit-def: $vgpr10_vgpr11
                                        ; implicit-def: $vgpr118_vgpr119
                                        ; implicit-def: $vgpr102_vgpr103
                                        ; implicit-def: $vgpr52_vgpr53
                                        ; implicit-def: $vgpr122_vgpr123
                                        ; implicit-def: $vgpr86_vgpr87
                                        ; implicit-def: $vgpr48_vgpr49
                                        ; implicit-def: $vgpr98_vgpr99
                                        ; implicit-def: $vgpr110_vgpr111
                                        ; implicit-def: $vgpr62_vgpr63
                                        ; implicit-def: $vgpr126_vgpr127
                                        ; implicit-def: $vgpr130_vgpr131
                                        ; implicit-def: $vgpr44_vgpr45
                                        ; implicit-def: $vgpr74_vgpr75
                                        ; implicit-def: $vgpr78_vgpr79
                                        ; implicit-def: $vgpr58_vgpr59
                                        ; implicit-def: $vgpr134_vgpr135
                                        ; implicit-def: $vgpr138_vgpr139
                                        ; implicit-def: $vgpr94_vgpr95
                                        ; implicit-def: $vgpr146_vgpr147
                                        ; implicit-def: $vgpr150_vgpr151
                                        ; implicit-def: $vgpr142_vgpr143
                                        ; implicit-def: $vgpr14_vgpr15
                                        ; implicit-def: $vgpr6_vgpr7
                                        ; implicit-def: $vgpr154_vgpr155
	s_xor_b64 exec, exec, s[0:1]
	s_cbranch_execz .LBB0_13
; %bb.12:
	s_add_u32 s2, s12, s2
	s_addc_u32 s3, s13, s3
	s_load_dwordx2 s[2:3], s[2:3], 0x0
	s_mov_b32 s12, 0x2d82d83
	s_waitcnt lgkmcnt(0)
	v_mul_lo_u32 v1, s3, v158
	v_mul_lo_u32 v2, s2, v159
	v_mad_u64_u32 v[6:7], s[2:3], s2, v158, 0
	v_add3_u32 v7, v7, v2, v1
	v_mul_hi_u32 v1, v0, s12
	v_mul_u32_u24_e32 v1, 0x5a, v1
	v_sub_u32_e32 v170, v0, v1
	v_mad_u64_u32 v[2:3], s[2:3], s18, v170, 0
	v_mov_b32_e32 v0, v3
	v_mad_u64_u32 v[0:1], s[2:3], s19, v170, v[0:1]
	v_mov_b32_e32 v3, v0
	v_lshl_add_u64 v[0:1], v[6:7], 4, s[4:5]
	v_add_u32_e32 v7, 0x384, v170
	v_lshl_add_u64 v[0:1], v[4:5], 4, v[0:1]
	v_mad_u64_u32 v[4:5], s[2:3], s18, v7, 0
	v_mov_b32_e32 v6, v5
	v_mad_u64_u32 v[6:7], s[2:3], s19, v7, v[6:7]
	v_add_u32_e32 v9, 0x708, v170
	v_mov_b32_e32 v5, v6
	v_mad_u64_u32 v[6:7], s[2:3], s18, v9, 0
	v_mov_b32_e32 v8, v7
	v_mad_u64_u32 v[8:9], s[2:3], s19, v9, v[8:9]
	v_add_u32_e32 v191, 0x5a, v170
	v_mov_b32_e32 v7, v8
	;; [unrolled: 5-line block ×28, first 2 shown]
	v_mad_u64_u32 v[60:61], s[2:3], s18, v63, 0
	v_mov_b32_e32 v62, v61
	v_mad_u64_u32 v[62:63], s[2:3], s19, v63, v[62:63]
	v_lshl_add_u64 v[2:3], v[2:3], 4, v[0:1]
	v_lshl_add_u64 v[8:9], v[8:9], 4, v[0:1]
	;; [unrolled: 1-line block ×9, first 2 shown]
	v_mov_b32_e32 v61, v62
	v_lshl_add_u64 v[64:65], v[4:5], 4, v[0:1]
	v_lshl_add_u64 v[66:67], v[6:7], 4, v[0:1]
	;; [unrolled: 1-line block ×21, first 2 shown]
	global_load_dwordx4 v[152:155], v[2:3], off
	global_load_dwordx4 v[4:7], v[64:65], off
	global_load_dwordx4 v[12:15], v[66:67], off
	global_load_dwordx4 v[140:143], v[8:9], off
	global_load_dwordx4 v[148:151], v[10:11], off
	global_load_dwordx4 v[144:147], v[68:69], off
	global_load_dwordx4 v[92:95], v[70:71], off
	global_load_dwordx4 v[136:139], v[16:17], off
	global_load_dwordx4 v[132:135], v[18:19], off
	global_load_dwordx4 v[56:59], v[20:21], off
	global_load_dwordx4 v[76:79], v[22:23], off
	global_load_dwordx4 v[72:75], v[24:25], off
	global_load_dwordx4 v[42:45], v[26:27], off
                                        ; kill: killed $vgpr8_vgpr9
                                        ; kill: killed $vgpr26_vgpr27
                                        ; kill: killed $vgpr22_vgpr23
                                        ; kill: killed $vgpr18_vgpr19
                                        ; kill: killed $vgpr66_vgpr67
                                        ; kill: killed $vgpr20_vgpr21
                                        ; kill: killed $vgpr16_vgpr17
                                        ; kill: killed $vgpr68_vgpr69
                                        ; kill: killed $vgpr64_vgpr65
                                        ; kill: killed $vgpr70_vgpr71
                                        ; kill: killed $vgpr10_vgpr11
                                        ; kill: killed $vgpr2_vgpr3
                                        ; kill: killed $vgpr24_vgpr25
	global_load_dwordx4 v[128:131], v[28:29], off
	global_load_dwordx4 v[124:127], v[30:31], off
	;; [unrolled: 1-line block ×7, first 2 shown]
                                        ; kill: killed $vgpr40_vgpr41
                                        ; kill: killed $vgpr36_vgpr37
                                        ; kill: killed $vgpr38_vgpr39
                                        ; kill: killed $vgpr34_vgpr35
                                        ; kill: killed $vgpr30_vgpr31
                                        ; kill: killed $vgpr32_vgpr33
                                        ; kill: killed $vgpr28_vgpr29
	global_load_dwordx4 v[120:123], v[80:81], off
	global_load_dwordx4 v[50:53], v[82:83], off
	;; [unrolled: 1-line block ×3, first 2 shown]
                                        ; kill: killed $vgpr88_vgpr89
                                        ; kill: killed $vgpr80_vgpr81
                                        ; kill: killed $vgpr82_vgpr83
	global_load_dwordx4 v[116:119], v[90:91], off
	global_load_dwordx4 v[8:11], v[104:105], off
                                        ; kill: killed $vgpr104_vgpr105
                                        ; kill: killed $vgpr90_vgpr91
	global_load_dwordx4 v[112:115], v[106:107], off
	s_nop 0
	global_load_dwordx4 v[104:107], v[54:55], off
	global_load_dwordx4 v[0:3], v[160:161], off
	;; [unrolled: 1-line block ×4, first 2 shown]
.LBB0_13:
	s_or_b64 exec, exec, s[0:1]
	s_waitcnt vmcnt(27)
	v_add_f64 v[18:19], v[12:13], v[4:5]
	s_mov_b32 s2, 0xe8584caa
	v_add_f64 v[16:17], v[4:5], v[152:153]
	v_fmac_f64_e32 v[152:153], -0.5, v[18:19]
	v_add_f64 v[20:21], v[6:7], -v[14:15]
	s_mov_b32 s3, 0x3febb67a
	s_mov_b32 s5, 0xbfebb67a
	;; [unrolled: 1-line block ×3, first 2 shown]
	v_fma_f64 v[18:19], s[2:3], v[20:21], v[152:153]
	v_fmac_f64_e32 v[152:153], s[4:5], v[20:21]
	v_add_f64 v[20:21], v[6:7], v[154:155]
	v_add_f64 v[6:7], v[14:15], v[6:7]
	v_fmac_f64_e32 v[154:155], -0.5, v[6:7]
	s_waitcnt vmcnt(24)
	v_add_f64 v[6:7], v[144:145], v[148:149]
	v_add_f64 v[16:17], v[12:13], v[16:17]
	;; [unrolled: 1-line block ×3, first 2 shown]
	v_add_f64 v[4:5], v[4:5], -v[12:13]
	v_add_f64 v[12:13], v[148:149], v[140:141]
	v_fmac_f64_e32 v[140:141], -0.5, v[6:7]
	v_add_f64 v[14:15], v[150:151], -v[146:147]
	s_waitcnt vmcnt(21)
	v_add_f64 v[20:21], v[132:133], v[136:137]
	v_fma_f64 v[6:7], s[2:3], v[14:15], v[140:141]
	v_fmac_f64_e32 v[140:141], s[4:5], v[14:15]
	v_add_f64 v[14:15], v[136:137], v[92:93]
	v_fmac_f64_e32 v[92:93], -0.5, v[20:21]
	v_add_f64 v[20:21], v[138:139], -v[134:135]
	s_waitcnt vmcnt(18)
	v_add_f64 v[24:25], v[72:73], v[76:77]
	v_fma_f64 v[22:23], s[2:3], v[20:21], v[92:93]
	v_fmac_f64_e32 v[92:93], s[4:5], v[20:21]
	;; [unrolled: 7-line block ×4, first 2 shown]
	v_add_f64 v[28:29], v[108:109], v[60:61]
	v_fmac_f64_e32 v[60:61], -0.5, v[32:33]
	v_add_f64 v[32:33], v[110:111], -v[98:99]
	s_waitcnt vmcnt(9)
	v_add_f64 v[36:37], v[120:121], v[84:85]
	v_mad_u32_u24 v204, v170, 24, 0
	v_add_f64 v[12:13], v[144:145], v[12:13]
	v_mad_i32_i24 v205, v191, 24, 0
	v_fma_f64 v[34:35], s[2:3], v[32:33], v[60:61]
	v_fmac_f64_e32 v[60:61], s[4:5], v[32:33]
	v_add_f64 v[32:33], v[84:85], v[46:47]
	v_fmac_f64_e32 v[46:47], -0.5, v[36:37]
	v_add_f64 v[36:37], v[86:87], -v[122:123]
	s_waitcnt vmcnt(6)
	v_add_f64 v[40:41], v[116:117], v[100:101]
	ds_write2_b64 v204, v[16:17], v[18:19] offset1:1
	ds_write_b64 v204, v[152:153] offset:16
	ds_write2_b64 v205, v[12:13], v[6:7] offset1:1
	s_waitcnt vmcnt(3)
	v_add_f64 v[12:13], v[104:105], v[112:113]
	v_fma_f64 v[38:39], s[2:3], v[36:37], v[46:47]
	v_fmac_f64_e32 v[46:47], s[4:5], v[36:37]
	v_add_f64 v[36:37], v[100:101], v[50:51]
	v_fmac_f64_e32 v[50:51], -0.5, v[40:41]
	v_add_f64 v[16:17], v[102:103], -v[118:119]
	v_add_f64 v[6:7], v[112:113], v[8:9]
	v_fmac_f64_e32 v[8:9], -0.5, v[12:13]
	v_add_f64 v[12:13], v[114:115], -v[106:107]
	v_fma_f64 v[18:19], s[2:3], v[16:17], v[50:51]
	v_fmac_f64_e32 v[50:51], s[4:5], v[16:17]
	v_fma_f64 v[16:17], s[2:3], v[12:13], v[8:9]
	v_fmac_f64_e32 v[8:9], s[4:5], v[12:13]
	v_add_f64 v[12:13], v[132:133], v[14:15]
	v_mad_i32_i24 v206, v192, 24, 0
	s_waitcnt vmcnt(0)
	v_add_f64 v[14:15], v[80:81], v[88:89]
	ds_write_b64 v205, v[140:141] offset:16
	ds_write2_b64 v206, v[12:13], v[22:23] offset1:1
	v_add_f64 v[12:13], v[88:89], v[0:1]
	v_fmac_f64_e32 v[0:1], -0.5, v[14:15]
	v_add_f64 v[14:15], v[72:73], v[20:21]
	v_mad_i32_i24 v178, v171, 24, 0
	ds_write_b64 v206, v[92:93] offset:16
	ds_write2_b64 v178, v[14:15], v[26:27] offset1:1
	v_add_f64 v[14:15], v[90:91], -v[82:83]
	v_fma_f64 v[20:21], s[2:3], v[14:15], v[0:1]
	v_fmac_f64_e32 v[0:1], s[4:5], v[14:15]
	v_add_f64 v[14:15], v[124:125], v[24:25]
	v_add_f64 v[22:23], v[96:97], v[28:29]
	;; [unrolled: 1-line block ×6, first 2 shown]
	v_mad_i32_i24 v207, v172, 24, 0
	v_mad_i32_i24 v208, v173, 24, 0
	;; [unrolled: 1-line block ×6, first 2 shown]
	v_lshlrev_b32_e32 v194, 4, v174
	s_load_dwordx2 s[10:11], s[10:11], 0x0
	ds_write_b64 v178, v[56:57] offset:16
	ds_write2_b64 v207, v[14:15], v[30:31] offset1:1
	ds_write_b64 v207, v[42:43] offset:16
	ds_write2_b64 v208, v[22:23], v[34:35] offset1:1
	;; [unrolled: 2-line block ×6, first 2 shown]
	ds_write_b64 v193, v[0:1] offset:16
	v_lshl_add_u32 v177, v170, 3, 0
	v_lshlrev_b32_e32 v198, 4, v171
	v_sub_u32_e32 v199, v188, v194
	v_lshlrev_b32_e32 v195, 4, v179
	v_fma_f64 v[0:1], s[4:5], v[4:5], v[154:155]
	v_fmac_f64_e32 v[154:155], s[2:3], v[4:5]
	v_add_f64 v[4:5], v[146:147], v[150:151]
	s_waitcnt lgkmcnt(0)
	s_barrier
	v_sub_u32_e32 v200, v178, v198
	v_sub_u32_e32 v201, v193, v195
	v_add_u32_e32 v183, 0x2000, v177
	v_add_u32_e32 v186, 0x2400, v177
	;; [unrolled: 1-line block ×6, first 2 shown]
	v_lshl_add_u32 v182, v191, 3, 0
	v_add_u32_e32 v203, 0x800, v177
	v_add_u32_e32 v202, 0x1000, v177
	;; [unrolled: 1-line block ×6, first 2 shown]
	v_lshl_add_u32 v185, v192, 3, 0
	ds_read_b64 v[164:165], v199
	ds_read_b64 v[162:163], v201
	;; [unrolled: 1-line block ×6, first 2 shown]
	ds_read2_b64 v[68:71], v183 offset0:56 offset1:146
	ds_read2_b64 v[32:35], v186 offset0:108 offset1:198
	;; [unrolled: 1-line block ×12, first 2 shown]
	s_waitcnt lgkmcnt(0)
	s_barrier
	ds_write2_b64 v204, v[168:169], v[0:1] offset1:1
	v_add_f64 v[0:1], v[150:151], v[142:143]
	v_add_f64 v[46:47], v[148:149], -v[144:145]
	v_fmac_f64_e32 v[142:143], -0.5, v[4:5]
	v_add_f64 v[0:1], v[146:147], v[0:1]
	v_fma_f64 v[4:5], s[4:5], v[46:47], v[142:143]
	ds_write_b64 v204, v[154:155] offset:16
	ds_write2_b64 v205, v[0:1], v[4:5] offset1:1
	v_add_f64 v[4:5], v[134:135], v[138:139]
	v_fmac_f64_e32 v[142:143], s[2:3], v[46:47]
	v_add_f64 v[0:1], v[138:139], v[94:95]
	v_add_f64 v[46:47], v[136:137], -v[132:133]
	v_fmac_f64_e32 v[94:95], -0.5, v[4:5]
	v_add_f64 v[0:1], v[134:135], v[0:1]
	v_fma_f64 v[4:5], s[4:5], v[46:47], v[94:95]
	ds_write_b64 v205, v[142:143] offset:16
	ds_write2_b64 v206, v[0:1], v[4:5] offset1:1
	v_add_f64 v[0:1], v[78:79], v[58:59]
	v_add_f64 v[4:5], v[74:75], v[78:79]
	;; [unrolled: 1-line block ×4, first 2 shown]
	v_fmac_f64_e32 v[94:95], s[2:3], v[46:47]
	v_add_f64 v[46:47], v[76:77], -v[72:73]
	v_add_f64 v[76:77], v[98:99], v[110:111]
	v_add_f64 v[74:75], v[98:99], v[74:75]
	v_add_f64 v[98:99], v[100:101], -v[116:117]
	v_add_f64 v[100:101], v[114:115], v[10:11]
	ds_write_b64 v206, v[94:95] offset:16
	v_add_f64 v[60:61], v[126:127], v[130:131]
	v_add_f64 v[78:79], v[108:109], -v[96:97]
	v_add_f64 v[92:93], v[86:87], v[48:49]
	v_add_f64 v[86:87], v[122:123], v[86:87]
	;; [unrolled: 1-line block ×8, first 2 shown]
	v_fmac_f64_e32 v[58:59], -0.5, v[4:5]
	v_add_f64 v[50:51], v[130:131], v[44:45]
	v_add_f64 v[72:73], v[128:129], -v[124:125]
	v_add_f64 v[84:85], v[84:85], -v[120:121]
	;; [unrolled: 1-line block ×4, first 2 shown]
	v_fma_f64 v[4:5], s[4:5], v[46:47], v[58:59]
	v_fmac_f64_e32 v[44:45], -0.5, v[60:61]
	v_fmac_f64_e32 v[62:63], -0.5, v[76:77]
	;; [unrolled: 1-line block ×6, first 2 shown]
	s_movk_i32 s0, 0xab
	v_add_f64 v[50:51], v[126:127], v[50:51]
	v_add_f64 v[92:93], v[122:123], v[92:93]
	;; [unrolled: 1-line block ×4, first 2 shown]
	v_fmac_f64_e32 v[58:59], s[2:3], v[46:47]
	v_fma_f64 v[46:47], s[4:5], v[72:73], v[44:45]
	v_fmac_f64_e32 v[44:45], s[2:3], v[72:73]
	v_fma_f64 v[60:61], s[4:5], v[78:79], v[62:63]
	;; [unrolled: 2-line block ×6, first 2 shown]
	v_fmac_f64_e32 v[2:3], s[2:3], v[80:81]
	ds_write2_b64 v178, v[0:1], v[4:5] offset1:1
	ds_write_b64 v178, v[58:59] offset:16
	ds_write2_b64 v207, v[50:51], v[46:47] offset1:1
	ds_write_b64 v207, v[44:45] offset:16
	;; [unrolled: 2-line block ×7, first 2 shown]
	v_mul_lo_u16_sdwa v0, v170, s0 dst_sel:DWORD dst_unused:UNUSED_PAD src0_sel:BYTE_0 src1_sel:DWORD
	v_lshrrev_b16_e32 v116, 9, v0
	v_mul_lo_u16_e32 v0, 3, v116
	v_sub_u16_e32 v117, v170, v0
	v_mov_b32_e32 v168, 9
	v_mul_u32_u24_sdwa v0, v117, v168 dst_sel:DWORD dst_unused:UNUSED_PAD src0_sel:BYTE_0 src1_sel:DWORD
	v_lshlrev_b32_e32 v10, 4, v0
	s_waitcnt lgkmcnt(0)
	s_barrier
	global_load_dwordx4 v[44:47], v10, s[8:9] offset:48
	global_load_dwordx4 v[48:51], v10, s[8:9] offset:80
	v_mul_lo_u16_sdwa v0, v191, s0 dst_sel:DWORD dst_unused:UNUSED_PAD src0_sel:BYTE_0 src1_sel:DWORD
	v_lshrrev_b16_e32 v118, 9, v0
	v_mul_lo_u16_e32 v0, 3, v118
	v_sub_u16_e32 v119, v191, v0
	v_mul_u32_u24_sdwa v0, v119, v168 dst_sel:DWORD dst_unused:UNUSED_PAD src0_sel:BYTE_0 src1_sel:DWORD
	v_lshlrev_b32_e32 v11, 4, v0
	global_load_dwordx4 v[58:61], v11, s[8:9] offset:48
	global_load_dwordx4 v[76:79], v11, s[8:9] offset:80
	global_load_dwordx4 v[72:75], v10, s[8:9] offset:112
	global_load_dwordx4 v[84:87], v11, s[8:9] offset:112
	global_load_dwordx4 v[80:83], v11, s[8:9]
	s_mov_b32 s0, 0xaaab
	v_mul_u32_u24_sdwa v0, v192, s0 dst_sel:DWORD dst_unused:UNUSED_PAD src0_sel:WORD_0 src1_sel:DWORD
	v_lshrrev_b32_e32 v120, 17, v0
	v_mul_lo_u16_e32 v0, 3, v120
	v_sub_u16_e32 v121, v192, v0
	v_mul_u32_u24_e32 v0, 9, v121
	v_lshlrev_b32_e32 v126, 4, v0
	global_load_dwordx4 v[88:91], v126, s[8:9]
	global_load_dwordx4 v[92:95], v11, s[8:9] offset:16
	global_load_dwordx4 v[96:99], v126, s[8:9] offset:16
	;; [unrolled: 1-line block ×7, first 2 shown]
	ds_read2_b64 v[104:107], v183 offset0:56 offset1:146
	ds_read2_b64 v[112:115], v196 offset0:84 offset1:174
	global_load_dwordx4 v[146:149], v126, s[8:9] offset:64
	global_load_dwordx4 v[204:207], v10, s[8:9] offset:96
	;; [unrolled: 1-line block ×10, first 2 shown]
	s_mov_b32 s20, 0x134454ff
	s_mov_b32 s21, 0x3fee6f0e
	s_mov_b32 s18, 0x4755a5e
	s_mov_b32 s15, 0xbfee6f0e
	s_mov_b32 s14, s20
	s_mov_b32 s19, 0x3fe2cf23
	s_mov_b32 s0, 0x372fe950
	s_mov_b32 s13, 0xbfe2cf23
	s_mov_b32 s12, s18
	s_mov_b32 s1, 0x3fd3c6ef
	s_mov_b32 s22, 0x9b97f4a8
	s_mov_b32 s23, 0x3fe9e377
	s_movk_i32 s24, 0x89
	s_waitcnt vmcnt(24) lgkmcnt(1)
	v_mul_f64 v[4:5], v[104:105], v[46:47]
	v_fma_f64 v[52:53], v[68:69], v[44:45], -v[4:5]
	v_mul_f64 v[108:109], v[68:69], v[46:47]
	s_waitcnt vmcnt(23) lgkmcnt(0)
	v_mul_f64 v[4:5], v[112:113], v[50:51]
	v_mul_f64 v[110:111], v[64:65], v[50:51]
	v_fmac_f64_e32 v[108:109], v[104:105], v[44:45]
	v_fma_f64 v[44:45], v[64:65], v[48:49], -v[4:5]
	v_fmac_f64_e32 v[110:111], v[112:113], v[48:49]
	ds_read2_b64 v[48:51], v187 offset0:112 offset1:202
	s_waitcnt vmcnt(22)
	v_mul_f64 v[4:5], v[106:107], v[60:61]
	v_mul_f64 v[62:63], v[70:71], v[60:61]
	v_fma_f64 v[104:105], v[70:71], v[58:59], -v[4:5]
	v_fmac_f64_e32 v[62:63], v[106:107], v[58:59]
	ds_read2_b64 v[58:61], v203 offset0:104 offset1:194
	s_waitcnt vmcnt(21)
	v_mul_f64 v[4:5], v[114:115], v[78:79]
	v_fma_f64 v[106:107], v[66:67], v[76:77], -v[4:5]
	s_waitcnt vmcnt(20) lgkmcnt(1)
	v_mul_f64 v[4:5], v[48:49], v[74:75]
	v_fma_f64 v[46:47], v[54:55], v[72:73], -v[4:5]
	s_waitcnt vmcnt(19)
	v_mul_f64 v[4:5], v[50:51], v[86:87]
	v_fma_f64 v[112:113], v[56:57], v[84:85], -v[4:5]
	s_waitcnt vmcnt(18) lgkmcnt(0)
	v_mul_f64 v[4:5], v[58:59], v[82:83]
	v_fma_f64 v[64:65], v[6:7], v[80:81], -v[4:5]
	v_mul_f64 v[68:69], v[6:7], v[82:83]
	global_load_dwordx4 v[4:7], v10, s[8:9]
	v_mul_f64 v[66:67], v[66:67], v[78:79]
	v_mul_f64 v[128:129], v[54:55], v[74:75]
	s_waitcnt vmcnt(18)
	v_mul_f64 v[54:55], v[60:61], v[90:91]
	v_fmac_f64_e32 v[66:67], v[114:115], v[76:77]
	v_mul_f64 v[76:77], v[56:57], v[86:87]
	v_fmac_f64_e32 v[68:69], v[58:59], v[80:81]
	v_fma_f64 v[56:57], v[8:9], v[88:89], -v[54:55]
	v_mul_f64 v[58:59], v[8:9], v[90:91]
	global_load_dwordx4 v[8:11], v10, s[8:9] offset:16
	v_fmac_f64_e32 v[128:129], v[48:49], v[72:73]
	v_fmac_f64_e32 v[76:77], v[50:51], v[84:85]
	ds_read2_b64 v[48:51], v202 offset0:118 offset1:208
	ds_read2_b64 v[72:75], v181 offset0:132 offset1:222
	;; [unrolled: 1-line block ×3, first 2 shown]
	v_fmac_f64_e32 v[58:59], v[60:61], v[88:89]
	ds_read2_b64 v[86:89], v190 offset0:160 offset1:250
	s_waitcnt vmcnt(18) lgkmcnt(3)
	v_mul_f64 v[54:55], v[48:49], v[94:95]
	v_fma_f64 v[114:115], v[40:41], v[92:93], -v[54:55]
	v_mul_f64 v[84:85], v[40:41], v[94:95]
	s_waitcnt vmcnt(17)
	v_mul_f64 v[40:41], v[50:51], v[98:99]
	v_mul_f64 v[60:61], v[42:43], v[98:99]
	v_fma_f64 v[70:71], v[42:43], v[96:97], -v[40:41]
	v_fmac_f64_e32 v[60:61], v[50:51], v[96:97]
	s_waitcnt vmcnt(16) lgkmcnt(2)
	v_mul_f64 v[40:41], v[72:73], v[102:103]
	v_mul_f64 v[42:43], v[36:37], v[102:103]
	ds_read2_b64 v[94:97], v180 offset0:8 offset1:98
	v_fmac_f64_e32 v[84:85], v[48:49], v[92:93]
	v_fma_f64 v[48:49], v[36:37], v[100:101], -v[40:41]
	v_fmac_f64_e32 v[42:43], v[72:73], v[100:101]
	s_waitcnt vmcnt(15)
	v_mul_f64 v[36:37], v[74:75], v[124:125]
	ds_read2_b64 v[98:101], v184 offset0:60 offset1:150
	v_fma_f64 v[40:41], v[38:39], v[122:123], -v[36:37]
	v_mul_f64 v[36:37], v[38:39], v[124:125]
	s_waitcnt vmcnt(13) lgkmcnt(3)
	v_mul_f64 v[50:51], v[80:81], v[136:137]
	v_fmac_f64_e32 v[36:37], v[74:75], v[122:123]
	v_fma_f64 v[78:79], v[32:33], v[134:135], -v[50:51]
	v_mul_f64 v[74:75], v[32:33], v[136:137]
	s_waitcnt vmcnt(12) lgkmcnt(2)
	v_mul_f64 v[32:33], v[86:87], v[144:145]
	ds_read2_b64 v[122:125], v189 offset0:36 offset1:126
	v_mul_f64 v[38:39], v[82:83], v[132:133]
	v_fma_f64 v[32:33], v[28:29], v[142:143], -v[32:33]
	v_mul_f64 v[92:93], v[28:29], v[144:145]
	s_waitcnt vmcnt(11)
	v_mul_f64 v[28:29], v[88:89], v[148:149]
	v_fma_f64 v[38:39], v[34:35], v[130:131], -v[38:39]
	v_mul_f64 v[34:35], v[34:35], v[132:133]
	v_fma_f64 v[28:29], v[30:31], v[146:147], -v[28:29]
	v_mul_f64 v[72:73], v[30:31], v[148:149]
	s_waitcnt vmcnt(10) lgkmcnt(2)
	v_mul_f64 v[30:31], v[96:97], v[206:207]
	s_waitcnt vmcnt(8)
	v_mul_f64 v[50:51], v[94:95], v[210:211]
	v_fmac_f64_e32 v[34:35], v[82:83], v[130:131]
	v_fmac_f64_e32 v[74:75], v[80:81], v[134:135]
	;; [unrolled: 1-line block ×3, first 2 shown]
	v_fma_f64 v[30:31], v[26:27], v[204:205], -v[30:31]
	v_mul_f64 v[26:27], v[26:27], v[206:207]
	v_fma_f64 v[88:89], v[24:25], v[208:209], -v[50:51]
	v_mul_f64 v[80:81], v[24:25], v[210:211]
	s_waitcnt vmcnt(6) lgkmcnt(1)
	v_mul_f64 v[24:25], v[98:99], v[214:215]
	v_mul_f64 v[82:83], v[22:23], v[218:219]
	v_fmac_f64_e32 v[26:27], v[96:97], v[204:205]
	v_fma_f64 v[24:25], v[20:21], v[212:213], -v[24:25]
	v_mul_f64 v[96:97], v[20:21], v[214:215]
	v_mul_f64 v[20:21], v[100:101], v[218:219]
	v_fmac_f64_e32 v[82:83], v[100:101], v[216:217]
	ds_read2_b64 v[100:103], v197 offset0:88 offset1:178
	s_waitcnt vmcnt(4) lgkmcnt(1)
	v_mul_f64 v[50:51], v[122:123], v[226:227]
	v_fmac_f64_e32 v[80:81], v[94:95], v[208:209]
	v_fma_f64 v[94:95], v[16:17], v[224:225], -v[50:51]
	ds_read_b64 v[50:51], v200
	ds_read_b64 v[54:55], v199
	v_fmac_f64_e32 v[96:97], v[98:99], v[212:213]
	v_mul_f64 v[90:91], v[16:17], v[226:227]
	s_waitcnt lgkmcnt(2)
	v_mul_f64 v[16:17], v[100:101], v[230:231]
	v_mul_f64 v[98:99], v[12:13], v[230:231]
	v_fma_f64 v[16:17], v[12:13], v[228:229], -v[16:17]
	v_fmac_f64_e32 v[98:99], v[100:101], v[228:229]
	s_waitcnt vmcnt(3)
	v_mul_f64 v[12:13], v[102:103], v[234:235]
	ds_read_b64 v[100:101], v185
	v_fmac_f64_e32 v[92:93], v[86:87], v[142:143]
	v_fma_f64 v[12:13], v[14:15], v[232:233], -v[12:13]
	v_mul_f64 v[86:87], v[14:15], v[234:235]
	s_waitcnt vmcnt(1) lgkmcnt(2)
	v_mul_f64 v[14:15], v[50:51], v[6:7]
	v_fmac_f64_e32 v[86:87], v[102:103], v[232:233]
	v_fma_f64 v[102:103], v[166:167], v[4:5], -v[14:15]
	ds_read_b64 v[14:15], v201
	v_mul_f64 v[130:131], v[166:167], v[6:7]
	v_fmac_f64_e32 v[130:131], v[50:51], v[4:5]
	v_fma_f64 v[20:21], v[22:23], v[216:217], -v[20:21]
	v_mul_f64 v[22:23], v[124:125], v[222:223]
	s_waitcnt vmcnt(0) lgkmcnt(2)
	v_mul_f64 v[4:5], v[54:55], v[10:11]
	v_fma_f64 v[6:7], v[164:165], v[8:9], -v[4:5]
	v_mul_f64 v[4:5], v[164:165], v[10:11]
	v_fmac_f64_e32 v[4:5], v[54:55], v[8:9]
	s_waitcnt lgkmcnt(0)
	v_mul_f64 v[8:9], v[14:15], v[2:3]
	v_mul_f64 v[54:55], v[162:163], v[2:3]
	v_fma_f64 v[22:23], v[18:19], v[220:221], -v[22:23]
	v_mul_f64 v[18:19], v[18:19], v[222:223]
	v_fma_f64 v[50:51], v[162:163], v[0:1], -v[8:9]
	v_fmac_f64_e32 v[54:55], v[14:15], v[0:1]
	v_add_f64 v[0:1], v[6:7], -v[52:53]
	v_add_f64 v[2:3], v[46:47], -v[44:45]
	v_fmac_f64_e32 v[18:19], v[124:125], v[220:221]
	v_fmac_f64_e32 v[90:91], v[122:123], v[224:225]
	v_add_f64 v[122:123], v[0:1], v[2:3]
	v_add_f64 v[0:1], v[50:51], -v[38:39]
	v_add_f64 v[2:3], v[22:23], -v[30:31]
	v_add_f64 v[124:125], v[0:1], v[2:3]
	v_add_f64 v[0:1], v[54:55], -v[34:35]
	v_add_f64 v[2:3], v[18:19], -v[26:27]
	v_mov_b32_e32 v162, 3
	v_add_f64 v[126:127], v[0:1], v[2:3]
	v_mul_u32_u24_e32 v0, 0xf0, v116
	v_lshlrev_b32_sdwa v1, v162, v117 dst_sel:DWORD dst_unused:UNUSED_PAD src0_sel:DWORD src1_sel:BYTE_0
	v_add3_u32 v163, 0, v0, v1
	v_add_f64 v[0:1], v[52:53], v[44:45]
	v_fma_f64 v[116:117], -0.5, v[0:1], v[160:161]
	v_add_f64 v[0:1], v[160:161], v[6:7]
	v_add_f64 v[0:1], v[0:1], v[52:53]
	;; [unrolled: 1-line block ×5, first 2 shown]
	v_fma_f64 v[2:3], -0.5, v[0:1], v[102:103]
	v_add_f64 v[0:1], v[102:103], v[50:51]
	v_add_f64 v[0:1], v[0:1], v[38:39]
	;; [unrolled: 1-line block ×5, first 2 shown]
	v_fma_f64 v[10:11], -0.5, v[0:1], v[130:131]
	v_add_f64 v[164:165], v[50:51], -v[22:23]
	v_add_f64 v[148:149], v[54:55], -v[18:19]
	;; [unrolled: 1-line block ×3, first 2 shown]
	v_fma_f64 v[14:15], s[14:15], v[164:165], v[10:11]
	v_add_f64 v[138:139], v[4:5], -v[128:129]
	v_fma_f64 v[8:9], s[20:21], v[148:149], v[2:3]
	v_add_f64 v[150:151], v[34:35], -v[26:27]
	v_fmac_f64_e32 v[14:15], s[12:13], v[166:167]
	v_fma_f64 v[142:143], s[20:21], v[138:139], v[116:117]
	v_add_f64 v[144:145], v[108:109], -v[110:111]
	v_fmac_f64_e32 v[8:9], s[18:19], v[150:151]
	v_fmac_f64_e32 v[14:15], s[0:1], v[126:127]
	;; [unrolled: 1-line block ×4, first 2 shown]
	v_mul_f64 v[204:205], v[14:15], s[18:19]
	v_fmac_f64_e32 v[142:143], s[0:1], v[122:123]
	v_fmac_f64_e32 v[204:205], s[22:23], v[8:9]
	v_add_f64 v[134:135], v[146:147], v[154:155]
	v_add_f64 v[136:137], v[142:143], v[204:205]
	ds_read_b64 v[132:133], v177
	ds_read_b64 v[0:1], v182
	s_waitcnt lgkmcnt(0)
	s_barrier
	ds_write2_b64 v163, v[134:135], v[136:137] offset1:3
	v_add_f64 v[134:135], v[6:7], v[46:47]
	v_fmac_f64_e32 v[160:161], -0.5, v[134:135]
	v_add_f64 v[134:135], v[52:53], -v[6:7]
	v_add_f64 v[136:137], v[44:45], -v[46:47]
	v_fma_f64 v[206:207], s[14:15], v[144:145], v[160:161]
	v_fmac_f64_e32 v[160:161], s[20:21], v[144:145]
	v_add_f64 v[134:135], v[134:135], v[136:137]
	v_fmac_f64_e32 v[206:207], s[18:19], v[138:139]
	v_fmac_f64_e32 v[160:161], s[12:13], v[138:139]
	;; [unrolled: 1-line block ×4, first 2 shown]
	v_add_f64 v[134:135], v[50:51], v[22:23]
	v_fmac_f64_e32 v[102:103], -0.5, v[134:135]
	v_add_f64 v[38:39], v[38:39], -v[50:51]
	v_add_f64 v[22:23], v[30:31], -v[22:23]
	v_fma_f64 v[134:135], s[14:15], v[150:151], v[102:103]
	v_fmac_f64_e32 v[102:103], s[20:21], v[150:151]
	v_add_f64 v[22:23], v[38:39], v[22:23]
	v_fmac_f64_e32 v[134:135], s[18:19], v[148:149]
	v_fmac_f64_e32 v[102:103], s[12:13], v[148:149]
	v_add_f64 v[30:31], v[54:55], v[18:19]
	v_fmac_f64_e32 v[134:135], s[0:1], v[22:23]
	v_fmac_f64_e32 v[102:103], s[0:1], v[22:23]
	v_add_f64 v[22:23], v[130:131], v[54:55]
	v_fmac_f64_e32 v[130:131], -0.5, v[30:31]
	v_add_f64 v[30:31], v[34:35], -v[54:55]
	v_add_f64 v[38:39], v[26:27], -v[18:19]
	v_fma_f64 v[136:137], s[20:21], v[166:167], v[130:131]
	v_add_f64 v[30:31], v[30:31], v[38:39]
	v_fmac_f64_e32 v[130:131], s[14:15], v[166:167]
	v_fmac_f64_e32 v[136:137], s[12:13], v[164:165]
	;; [unrolled: 1-line block ×5, first 2 shown]
	v_mul_f64 v[30:31], v[136:137], s[20:21]
	v_mul_f64 v[38:39], v[102:103], s[0:1]
	v_fmac_f64_e32 v[2:3], s[14:15], v[148:149]
	v_fmac_f64_e32 v[30:31], s[0:1], v[134:135]
	v_fma_f64 v[38:39], v[130:131], s[20:21], -v[38:39]
	v_fmac_f64_e32 v[2:3], s[12:13], v[150:151]
	v_fmac_f64_e32 v[10:11], s[20:21], v[164:165]
	v_add_f64 v[50:51], v[206:207], v[30:31]
	v_add_f64 v[54:55], v[160:161], v[38:39]
	v_fmac_f64_e32 v[116:117], s[14:15], v[138:139]
	v_fmac_f64_e32 v[2:3], s[0:1], v[124:125]
	;; [unrolled: 1-line block ×3, first 2 shown]
	ds_write2_b64 v163, v[50:51], v[54:55] offset0:6 offset1:9
	v_fmac_f64_e32 v[116:117], s[12:13], v[144:145]
	v_fmac_f64_e32 v[10:11], s[0:1], v[126:127]
	v_mul_f64 v[54:55], v[2:3], s[22:23]
	v_fmac_f64_e32 v[116:117], s[0:1], v[122:123]
	v_fma_f64 v[54:55], v[10:11], s[18:19], -v[54:55]
	v_add_f64 v[50:51], v[146:147], -v[154:155]
	v_add_f64 v[122:123], v[116:117], v[54:55]
	ds_write2_b64 v163, v[122:123], v[50:51] offset0:12 offset1:15
	v_add_f64 v[50:51], v[142:143], -v[204:205]
	v_add_f64 v[30:31], v[206:207], -v[30:31]
	ds_write2_b64 v163, v[50:51], v[30:31] offset0:18 offset1:21
	v_add_f64 v[30:31], v[160:161], -v[38:39]
	v_add_f64 v[38:39], v[116:117], -v[54:55]
	v_add_f64 v[144:145], v[64:65], v[48:49]
	ds_write2_b64 v163, v[30:31], v[38:39] offset0:24 offset1:27
	v_add_f64 v[30:31], v[114:115], -v[104:105]
	v_add_f64 v[38:39], v[112:113], -v[106:107]
	v_add_f64 v[144:145], v[144:145], v[32:33]
	v_add_f64 v[30:31], v[30:31], v[38:39]
	v_add_f64 v[38:39], v[48:49], -v[32:33]
	v_add_f64 v[50:51], v[16:17], -v[24:25]
	v_add_f64 v[144:145], v[144:145], v[24:25]
	v_add_f64 v[38:39], v[38:39], v[50:51]
	v_add_f64 v[50:51], v[42:43], -v[92:93]
	v_add_f64 v[54:55], v[98:99], -v[96:97]
	v_add_f64 v[164:165], v[144:145], v[16:17]
	v_add_f64 v[144:145], v[92:93], v[96:97]
	v_add_f64 v[50:51], v[50:51], v[54:55]
	v_mul_u32_u24_e32 v54, 0xf0, v118
	v_lshlrev_b32_sdwa v55, v162, v119 dst_sel:DWORD dst_unused:UNUSED_PAD src0_sel:DWORD src1_sel:BYTE_0
	v_add_f64 v[126:127], v[32:33], v[24:25]
	v_fma_f64 v[144:145], -0.5, v[144:145], v[68:69]
	v_add_f64 v[166:167], v[48:49], -v[16:17]
	v_add3_u32 v169, 0, v54, v55
	v_add_f64 v[54:55], v[104:105], v[106:107]
	v_fma_f64 v[138:139], -0.5, v[126:127], v[64:65]
	v_add_f64 v[126:127], v[42:43], -v[98:99]
	v_add_f64 v[204:205], v[32:33], -v[24:25]
	v_fma_f64 v[146:147], s[14:15], v[166:167], v[144:145]
	v_fma_f64 v[54:55], -0.5, v[54:55], v[152:153]
	v_add_f64 v[116:117], v[84:85], -v[76:77]
	v_add_f64 v[124:125], v[152:153], v[114:115]
	v_fma_f64 v[142:143], s[20:21], v[126:127], v[138:139]
	v_add_f64 v[160:161], v[92:93], -v[96:97]
	v_fmac_f64_e32 v[146:147], s[12:13], v[204:205]
	v_fma_f64 v[118:119], s[20:21], v[116:117], v[54:55]
	v_add_f64 v[122:123], v[62:63], -v[66:67]
	v_add_f64 v[124:125], v[124:125], v[104:105]
	v_fmac_f64_e32 v[142:143], s[18:19], v[160:161]
	v_fmac_f64_e32 v[146:147], s[0:1], v[50:51]
	v_fmac_f64_e32 v[118:119], s[18:19], v[122:123]
	v_add_f64 v[124:125], v[124:125], v[106:107]
	v_fmac_f64_e32 v[142:143], s[0:1], v[38:39]
	v_mul_f64 v[206:207], v[146:147], s[18:19]
	v_fmac_f64_e32 v[118:119], s[0:1], v[30:31]
	v_add_f64 v[124:125], v[124:125], v[112:113]
	v_fmac_f64_e32 v[206:207], s[22:23], v[142:143]
	v_add_f64 v[148:149], v[124:125], v[164:165]
	v_add_f64 v[150:151], v[118:119], v[206:207]
	ds_write2_b64 v169, v[148:149], v[150:151] offset1:3
	v_add_f64 v[148:149], v[114:115], v[112:113]
	v_fmac_f64_e32 v[152:153], -0.5, v[148:149]
	v_add_f64 v[148:149], v[104:105], -v[114:115]
	v_add_f64 v[150:151], v[106:107], -v[112:113]
	v_fma_f64 v[208:209], s[14:15], v[122:123], v[152:153]
	v_fmac_f64_e32 v[152:153], s[20:21], v[122:123]
	v_add_f64 v[148:149], v[148:149], v[150:151]
	v_fmac_f64_e32 v[208:209], s[18:19], v[116:117]
	v_fmac_f64_e32 v[152:153], s[12:13], v[116:117]
	v_fmac_f64_e32 v[208:209], s[0:1], v[148:149]
	v_fmac_f64_e32 v[152:153], s[0:1], v[148:149]
	v_add_f64 v[148:149], v[48:49], v[16:17]
	v_fmac_f64_e32 v[64:65], -0.5, v[148:149]
	v_add_f64 v[32:33], v[32:33], -v[48:49]
	v_add_f64 v[16:17], v[24:25], -v[16:17]
	v_fma_f64 v[148:149], s[14:15], v[160:161], v[64:65]
	v_fmac_f64_e32 v[64:65], s[20:21], v[160:161]
	v_add_f64 v[16:17], v[32:33], v[16:17]
	v_fmac_f64_e32 v[148:149], s[18:19], v[126:127]
	v_fmac_f64_e32 v[64:65], s[12:13], v[126:127]
	;; [unrolled: 1-line block ×4, first 2 shown]
	v_add_f64 v[16:17], v[42:43], v[98:99]
	v_add_f64 v[150:151], v[68:69], v[42:43]
	v_fmac_f64_e32 v[68:69], -0.5, v[16:17]
	v_add_f64 v[16:17], v[92:93], -v[42:43]
	v_add_f64 v[24:25], v[96:97], -v[98:99]
	v_fma_f64 v[154:155], s[20:21], v[204:205], v[68:69]
	v_add_f64 v[16:17], v[16:17], v[24:25]
	v_fmac_f64_e32 v[68:69], s[14:15], v[204:205]
	v_fmac_f64_e32 v[154:155], s[12:13], v[166:167]
	;; [unrolled: 1-line block ×5, first 2 shown]
	v_mul_f64 v[16:17], v[154:155], s[20:21]
	v_mul_f64 v[24:25], v[64:65], s[0:1]
	v_fmac_f64_e32 v[138:139], s[14:15], v[126:127]
	v_fmac_f64_e32 v[16:17], s[0:1], v[148:149]
	v_fma_f64 v[24:25], v[68:69], s[20:21], -v[24:25]
	v_fmac_f64_e32 v[138:139], s[12:13], v[160:161]
	v_fmac_f64_e32 v[144:145], s[20:21], v[166:167]
	v_add_f64 v[32:33], v[208:209], v[16:17]
	v_add_f64 v[42:43], v[152:153], v[24:25]
	v_fmac_f64_e32 v[54:55], s[14:15], v[116:117]
	v_fmac_f64_e32 v[138:139], s[0:1], v[38:39]
	;; [unrolled: 1-line block ×3, first 2 shown]
	ds_write2_b64 v169, v[32:33], v[42:43] offset0:6 offset1:9
	v_fmac_f64_e32 v[54:55], s[12:13], v[122:123]
	v_fmac_f64_e32 v[144:145], s[0:1], v[50:51]
	v_mul_f64 v[32:33], v[138:139], s[22:23]
	v_fmac_f64_e32 v[54:55], s[0:1], v[30:31]
	v_fma_f64 v[32:33], v[144:145], s[18:19], -v[32:33]
	v_add_f64 v[30:31], v[124:125], -v[164:165]
	v_add_f64 v[38:39], v[54:55], v[32:33]
	ds_write2_b64 v169, v[38:39], v[30:31] offset0:12 offset1:15
	v_add_f64 v[30:31], v[118:119], -v[206:207]
	v_add_f64 v[16:17], v[208:209], -v[16:17]
	ds_write2_b64 v169, v[30:31], v[16:17] offset0:18 offset1:21
	v_add_f64 v[16:17], v[152:153], -v[24:25]
	v_add_f64 v[24:25], v[54:55], -v[32:33]
	;; [unrolled: 3-line block ×3, first 2 shown]
	v_add_f64 v[16:17], v[16:17], v[24:25]
	v_add_f64 v[24:25], v[40:41], -v[28:29]
	v_add_f64 v[30:31], v[12:13], -v[20:21]
	v_add_f64 v[24:25], v[24:25], v[30:31]
	v_add_f64 v[30:31], v[36:37], -v[72:73]
	v_add_f64 v[32:33], v[86:87], -v[82:83]
	v_add_f64 v[30:31], v[30:31], v[32:33]
	v_mul_u32_u24_e32 v32, 0xf0, v120
	v_lshlrev_b32_e32 v33, 3, v121
	v_add_f64 v[120:121], v[72:73], v[82:83]
	v_add_f64 v[54:55], v[28:29], v[20:21]
	v_fma_f64 v[164:165], -0.5, v[120:121], v[58:59]
	v_add_f64 v[120:121], v[40:41], -v[12:13]
	v_add3_u32 v228, 0, v32, v33
	v_add_f64 v[32:33], v[78:79], v[88:89]
	v_fma_f64 v[152:153], -0.5, v[54:55], v[56:57]
	v_add_f64 v[54:55], v[36:37], -v[86:87]
	v_add_f64 v[122:123], v[28:29], -v[20:21]
	v_fma_f64 v[166:167], s[14:15], v[120:121], v[164:165]
	v_fma_f64 v[32:33], -0.5, v[32:33], v[140:141]
	v_add_f64 v[38:39], v[60:61], -v[90:91]
	v_add_f64 v[50:51], v[140:141], v[70:71]
	v_fma_f64 v[160:161], s[20:21], v[54:55], v[152:153]
	v_add_f64 v[116:117], v[72:73], -v[82:83]
	v_add_f64 v[118:119], v[56:57], v[40:41]
	v_fmac_f64_e32 v[166:167], s[12:13], v[122:123]
	v_fma_f64 v[42:43], s[20:21], v[38:39], v[32:33]
	v_add_f64 v[48:49], v[74:75], -v[80:81]
	v_add_f64 v[50:51], v[50:51], v[78:79]
	v_fmac_f64_e32 v[160:161], s[18:19], v[116:117]
	v_add_f64 v[118:119], v[118:119], v[28:29]
	v_fmac_f64_e32 v[166:167], s[0:1], v[30:31]
	v_fmac_f64_e32 v[42:43], s[18:19], v[48:49]
	v_add_f64 v[50:51], v[50:51], v[88:89]
	v_fmac_f64_e32 v[160:161], s[0:1], v[24:25]
	v_add_f64 v[118:119], v[118:119], v[20:21]
	v_mul_f64 v[124:125], v[166:167], s[18:19]
	v_fmac_f64_e32 v[42:43], s[0:1], v[16:17]
	v_add_f64 v[50:51], v[50:51], v[94:95]
	v_add_f64 v[118:119], v[118:119], v[12:13]
	v_fmac_f64_e32 v[124:125], s[22:23], v[160:161]
	v_add_f64 v[126:127], v[50:51], v[118:119]
	v_add_f64 v[204:205], v[42:43], v[124:125]
	ds_write2_b64 v228, v[126:127], v[204:205] offset1:3
	v_add_f64 v[126:127], v[70:71], v[94:95]
	v_fmac_f64_e32 v[140:141], -0.5, v[126:127]
	v_add_f64 v[126:127], v[78:79], -v[70:71]
	v_add_f64 v[204:205], v[88:89], -v[94:95]
	v_add_f64 v[126:127], v[126:127], v[204:205]
	v_fma_f64 v[204:205], s[14:15], v[48:49], v[140:141]
	v_fmac_f64_e32 v[140:141], s[20:21], v[48:49]
	v_fmac_f64_e32 v[204:205], s[18:19], v[38:39]
	;; [unrolled: 1-line block ×5, first 2 shown]
	v_add_f64 v[126:127], v[40:41], v[12:13]
	v_fmac_f64_e32 v[56:57], -0.5, v[126:127]
	v_add_f64 v[28:29], v[28:29], -v[40:41]
	v_add_f64 v[12:13], v[20:21], -v[12:13]
	v_fma_f64 v[206:207], s[14:15], v[116:117], v[56:57]
	v_fmac_f64_e32 v[56:57], s[20:21], v[116:117]
	v_add_f64 v[12:13], v[28:29], v[12:13]
	v_fmac_f64_e32 v[206:207], s[18:19], v[54:55]
	v_fmac_f64_e32 v[56:57], s[12:13], v[54:55]
	;; [unrolled: 1-line block ×4, first 2 shown]
	v_add_f64 v[12:13], v[36:37], v[86:87]
	v_add_f64 v[208:209], v[58:59], v[36:37]
	v_fmac_f64_e32 v[58:59], -0.5, v[12:13]
	v_add_f64 v[12:13], v[72:73], -v[36:37]
	v_add_f64 v[20:21], v[82:83], -v[86:87]
	v_fma_f64 v[210:211], s[20:21], v[122:123], v[58:59]
	v_add_f64 v[12:13], v[12:13], v[20:21]
	v_fmac_f64_e32 v[58:59], s[14:15], v[122:123]
	v_fmac_f64_e32 v[210:211], s[12:13], v[120:121]
	;; [unrolled: 1-line block ×8, first 2 shown]
	v_mul_f64 v[12:13], v[210:211], s[20:21]
	v_mul_f64 v[20:21], v[56:57], s[0:1]
	v_fmac_f64_e32 v[32:33], s[14:15], v[38:39]
	v_fmac_f64_e32 v[152:153], s[0:1], v[24:25]
	v_fmac_f64_e32 v[164:165], s[18:19], v[122:123]
	v_fmac_f64_e32 v[12:13], s[0:1], v[206:207]
	v_fma_f64 v[20:21], v[58:59], s[20:21], -v[20:21]
	v_fmac_f64_e32 v[32:33], s[12:13], v[48:49]
	v_fmac_f64_e32 v[164:165], s[0:1], v[30:31]
	v_mul_f64 v[24:25], v[152:153], s[22:23]
	v_add_f64 v[28:29], v[204:205], v[12:13]
	v_add_f64 v[36:37], v[140:141], v[20:21]
	v_fmac_f64_e32 v[32:33], s[0:1], v[16:17]
	v_fma_f64 v[24:25], v[164:165], s[18:19], -v[24:25]
	ds_write2_b64 v228, v[28:29], v[36:37] offset0:6 offset1:9
	v_add_f64 v[16:17], v[50:51], -v[118:119]
	v_add_f64 v[28:29], v[32:33], v[24:25]
	ds_write2_b64 v228, v[28:29], v[16:17] offset0:12 offset1:15
	v_add_f64 v[16:17], v[42:43], -v[124:125]
	v_add_f64 v[12:13], v[204:205], -v[12:13]
	ds_write2_b64 v228, v[16:17], v[12:13] offset0:18 offset1:21
	v_add_f64 v[12:13], v[140:141], -v[20:21]
	v_add_f64 v[16:17], v[32:33], -v[24:25]
	;; [unrolled: 3-line block ×3, first 2 shown]
	v_add_f64 v[12:13], v[128:129], -v[110:111]
	v_add_f64 v[212:213], v[6:7], v[12:13]
	v_add_f64 v[6:7], v[22:23], v[34:35]
	;; [unrolled: 1-line block ×5, first 2 shown]
	v_fma_f64 v[218:219], -0.5, v[6:7], v[132:133]
	v_add_f64 v[204:205], v[52:53], -v[44:45]
	v_fma_f64 v[220:221], s[14:15], v[140:141], v[218:219]
	v_fmac_f64_e32 v[218:219], s[20:21], v[140:141]
	v_fmac_f64_e32 v[220:221], s[12:13], v[204:205]
	;; [unrolled: 1-line block ×4, first 2 shown]
	v_add_f64 v[6:7], v[132:133], v[4:5]
	v_fmac_f64_e32 v[218:219], s[0:1], v[212:213]
	v_add_f64 v[212:213], v[4:5], v[128:129]
	v_add_f64 v[6:7], v[6:7], v[108:109]
	v_fmac_f64_e32 v[132:133], -0.5, v[212:213]
	v_add_f64 v[4:5], v[108:109], -v[4:5]
	v_add_f64 v[108:109], v[110:111], -v[128:129]
	v_add_f64 v[4:5], v[4:5], v[108:109]
	v_fma_f64 v[108:109], s[20:21], v[204:205], v[132:133]
	v_fmac_f64_e32 v[132:133], s[14:15], v[204:205]
	v_fmac_f64_e32 v[108:109], s[12:13], v[140:141]
	;; [unrolled: 1-line block ×3, first 2 shown]
	v_add_f64 v[112:113], v[114:115], -v[112:113]
	v_add_f64 v[104:105], v[104:105], -v[106:107]
	;; [unrolled: 1-line block ×4, first 2 shown]
	v_add_f64 v[6:7], v[6:7], v[110:111]
	v_fmac_f64_e32 v[108:109], s[0:1], v[4:5]
	v_fmac_f64_e32 v[132:133], s[0:1], v[4:5]
	v_mul_f64 v[4:5], v[134:135], s[14:15]
	v_mul_f64 v[110:111], v[130:131], s[0:1]
	v_add_f64 v[106:107], v[106:107], v[114:115]
	v_add_f64 v[114:115], v[62:63], v[66:67]
	v_fmac_f64_e32 v[4:5], s[0:1], v[136:137]
	v_fma_f64 v[102:103], v[102:103], s[14:15], -v[110:111]
	v_fma_f64 v[114:115], -0.5, v[114:115], v[0:1]
	v_add_f64 v[222:223], v[6:7], v[128:129]
	v_add_f64 v[128:129], v[108:109], v[4:5]
	v_add_f64 v[4:5], v[108:109], -v[4:5]
	v_add_f64 v[108:109], v[132:133], v[102:103]
	v_add_f64 v[102:103], v[132:133], -v[102:103]
	v_fma_f64 v[132:133], s[14:15], v[112:113], v[114:115]
	v_fmac_f64_e32 v[114:115], s[20:21], v[112:113]
	v_fmac_f64_e32 v[132:133], s[12:13], v[104:105]
	;; [unrolled: 1-line block ×5, first 2 shown]
	v_add_f64 v[106:107], v[0:1], v[84:85]
	v_add_f64 v[70:71], v[70:71], -v[94:95]
	v_add_f64 v[78:79], v[78:79], -v[88:89]
	v_add_f64 v[88:89], v[60:61], -v[74:75]
	v_add_f64 v[94:95], v[90:91], -v[80:81]
	v_add_f64 v[134:135], v[84:85], v[76:77]
	v_add_f64 v[106:107], v[106:107], v[62:63]
	;; [unrolled: 1-line block ×4, first 2 shown]
	v_fmac_f64_e32 v[0:1], -0.5, v[134:135]
	v_add_f64 v[62:63], v[62:63], -v[84:85]
	v_add_f64 v[84:85], v[106:107], v[66:67]
	v_add_f64 v[66:67], v[66:67], -v[76:77]
	v_fma_f64 v[94:95], -0.5, v[94:95], v[100:101]
	v_add_f64 v[62:63], v[62:63], v[66:67]
	v_fma_f64 v[66:67], s[20:21], v[104:105], v[0:1]
	v_fmac_f64_e32 v[0:1], s[14:15], v[104:105]
	v_fma_f64 v[104:105], s[14:15], v[70:71], v[94:95]
	v_fmac_f64_e32 v[94:95], s[20:21], v[70:71]
	v_fmac_f64_e32 v[104:105], s[12:13], v[78:79]
	;; [unrolled: 1-line block ×5, first 2 shown]
	v_add_f64 v[88:89], v[100:101], v[60:61]
	v_add_f64 v[106:107], v[60:61], v[90:91]
	v_add_f64 v[88:89], v[88:89], v[74:75]
	v_fmac_f64_e32 v[100:101], -0.5, v[106:107]
	v_add_f64 v[60:61], v[74:75], -v[60:61]
	v_add_f64 v[74:75], v[88:89], v[80:81]
	v_add_f64 v[80:81], v[80:81], -v[90:91]
	v_add_f64 v[60:61], v[60:61], v[80:81]
	v_fma_f64 v[80:81], s[20:21], v[78:79], v[100:101]
	v_fmac_f64_e32 v[100:101], s[14:15], v[78:79]
	v_fmac_f64_e32 v[66:67], s[12:13], v[112:113]
	;; [unrolled: 1-line block ×5, first 2 shown]
	v_mul_f64 v[216:217], v[8:9], s[12:13]
	v_fmac_f64_e32 v[66:67], s[0:1], v[62:63]
	v_fmac_f64_e32 v[0:1], s[0:1], v[62:63]
	v_add_f64 v[62:63], v[150:151], v[92:93]
	v_mul_f64 v[92:93], v[148:149], s[14:15]
	v_mul_f64 v[68:69], v[68:69], s[0:1]
	v_fmac_f64_e32 v[80:81], s[0:1], v[60:61]
	v_fmac_f64_e32 v[100:101], s[0:1], v[60:61]
	v_add_f64 v[60:61], v[208:209], v[72:73]
	v_mul_f64 v[58:59], v[58:59], s[0:1]
	v_fmac_f64_e32 v[216:217], s[22:23], v[14:15]
	v_mul_f64 v[10:11], v[10:11], s[22:23]
	v_add_f64 v[84:85], v[84:85], v[76:77]
	v_add_f64 v[62:63], v[62:63], v[96:97]
	v_mul_f64 v[76:77], v[142:143], s[12:13]
	v_fmac_f64_e32 v[92:93], s[0:1], v[154:155]
	v_fma_f64 v[64:65], v[64:65], s[14:15], -v[68:69]
	v_mul_f64 v[68:69], v[144:145], s[22:23]
	v_add_f64 v[60:61], v[60:61], v[82:83]
	v_mul_f64 v[70:71], v[160:161], s[12:13]
	v_mul_f64 v[72:73], v[206:207], s[14:15]
	v_fma_f64 v[56:57], v[56:57], s[14:15], -v[58:59]
	v_mul_f64 v[58:59], v[164:165], s[22:23]
	v_add_f64 v[224:225], v[222:223], v[214:215]
	v_add_f64 v[226:227], v[220:221], v[216:217]
	v_fma_f64 v[2:3], v[2:3], s[12:13], -v[10:11]
	v_add_f64 v[62:63], v[62:63], v[98:99]
	v_fmac_f64_e32 v[76:77], s[22:23], v[146:147]
	v_fma_f64 v[68:69], v[138:139], s[12:13], -v[68:69]
	v_add_f64 v[98:99], v[66:67], v[92:93]
	v_add_f64 v[66:67], v[66:67], -v[92:93]
	v_add_f64 v[92:93], v[0:1], v[64:65]
	v_add_f64 v[0:1], v[0:1], -v[64:65]
	v_add_f64 v[74:75], v[74:75], v[90:91]
	v_add_f64 v[60:61], v[60:61], v[86:87]
	v_fmac_f64_e32 v[70:71], s[22:23], v[166:167]
	v_fmac_f64_e32 v[72:73], s[0:1], v[210:211]
	v_fma_f64 v[58:59], v[152:153], s[12:13], -v[58:59]
	s_waitcnt lgkmcnt(0)
	s_barrier
	ds_read_b64 v[124:125], v199
	ds_read_b64 v[122:123], v201
	;; [unrolled: 1-line block ×6, first 2 shown]
	ds_read2_b64 v[52:55], v183 offset0:56 offset1:146
	ds_read2_b64 v[32:35], v186 offset0:108 offset1:198
	;; [unrolled: 1-line block ×12, first 2 shown]
	s_waitcnt lgkmcnt(0)
	s_barrier
	ds_write2_b64 v163, v[224:225], v[226:227] offset1:3
	v_add_f64 v[10:11], v[222:223], -v[214:215]
	v_add_f64 v[110:111], v[220:221], -v[216:217]
	v_add_f64 v[130:131], v[218:219], v[2:3]
	v_add_f64 v[2:3], v[218:219], -v[2:3]
	v_add_f64 v[96:97], v[84:85], v[62:63]
	;; [unrolled: 2-line block ×9, first 2 shown]
	v_add_f64 v[58:59], v[94:95], -v[58:59]
	ds_write2_b64 v163, v[128:129], v[108:109] offset0:6 offset1:9
	ds_write2_b64 v163, v[130:131], v[10:11] offset0:12 offset1:15
	;; [unrolled: 1-line block ×4, first 2 shown]
	ds_write2_b64 v169, v[96:97], v[84:85] offset1:3
	ds_write2_b64 v169, v[98:99], v[92:93] offset0:6 offset1:9
	ds_write2_b64 v169, v[64:65], v[62:63] offset0:12 offset1:15
	;; [unrolled: 1-line block ×4, first 2 shown]
	ds_write2_b64 v228, v[78:79], v[74:75] offset1:3
	ds_write2_b64 v228, v[82:83], v[80:81] offset0:6 offset1:9
	ds_write2_b64 v228, v[86:87], v[60:61] offset0:12 offset1:15
	ds_write2_b64 v228, v[70:71], v[72:73] offset0:18 offset1:21
	ds_write2_b64 v228, v[56:57], v[58:59] offset0:24 offset1:27
	v_mul_lo_u16_sdwa v0, v170, s24 dst_sel:DWORD dst_unused:UNUSED_PAD src0_sel:BYTE_0 src1_sel:DWORD
	v_lshrrev_b16_e32 v142, 12, v0
	v_mul_lo_u16_e32 v0, 30, v142
	v_sub_u16_e32 v143, v170, v0
	v_mul_u32_u24_sdwa v0, v143, v168 dst_sel:DWORD dst_unused:UNUSED_PAD src0_sel:BYTE_0 src1_sel:DWORD
	v_lshlrev_b32_e32 v10, 4, v0
	v_mul_lo_u16_sdwa v0, v191, s24 dst_sel:DWORD dst_unused:UNUSED_PAD src0_sel:BYTE_0 src1_sel:DWORD
	s_waitcnt lgkmcnt(0)
	s_barrier
	global_load_dwordx4 v[56:59], v10, s[8:9] offset:480
	global_load_dwordx4 v[60:63], v10, s[8:9] offset:512
	v_lshrrev_b16_e32 v150, 12, v0
	v_mul_lo_u16_e32 v0, 30, v150
	v_sub_u16_e32 v151, v191, v0
	v_mul_u32_u24_sdwa v0, v151, v168 dst_sel:DWORD dst_unused:UNUSED_PAD src0_sel:BYTE_0 src1_sel:DWORD
	v_lshlrev_b32_e32 v11, 4, v0
	global_load_dwordx4 v[64:67], v11, s[8:9] offset:480
	global_load_dwordx4 v[80:83], v11, s[8:9] offset:512
	;; [unrolled: 1-line block ×5, first 2 shown]
	s_mov_b32 s24, 0x8889
	v_mul_u32_u24_sdwa v0, v192, s24 dst_sel:DWORD dst_unused:UNUSED_PAD src0_sel:WORD_0 src1_sel:DWORD
	v_lshrrev_b32_e32 v164, 20, v0
	v_mul_lo_u16_e32 v0, 30, v164
	v_sub_u16_e32 v165, v192, v0
	v_mul_u32_u24_e32 v0, 9, v165
	v_lshlrev_b32_e32 v148, 4, v0
	global_load_dwordx4 v[84:87], v148, s[8:9] offset:432
	global_load_dwordx4 v[88:91], v11, s[8:9] offset:448
	;; [unrolled: 1-line block ×8, first 2 shown]
	ds_read2_b64 v[130:133], v183 offset0:56 offset1:146
	ds_read2_b64 v[138:141], v196 offset0:84 offset1:174
	global_load_dwordx4 v[144:147], v148, s[8:9] offset:496
	global_load_dwordx4 v[152:155], v10, s[8:9] offset:528
	;; [unrolled: 1-line block ×10, first 2 shown]
	s_waitcnt vmcnt(24) lgkmcnt(1)
	v_mul_f64 v[4:5], v[130:131], v[58:59]
	v_fma_f64 v[134:135], v[52:53], v[56:57], -v[4:5]
	v_mul_f64 v[128:129], v[52:53], v[58:59]
	s_waitcnt vmcnt(23) lgkmcnt(0)
	v_mul_f64 v[4:5], v[138:139], v[62:63]
	v_fmac_f64_e32 v[128:129], v[130:131], v[56:57]
	v_fma_f64 v[136:137], v[48:49], v[60:61], -v[4:5]
	v_mul_f64 v[130:131], v[48:49], v[62:63]
	s_waitcnt vmcnt(22)
	v_mul_f64 v[4:5], v[132:133], v[66:67]
	v_fmac_f64_e32 v[130:131], v[138:139], v[60:61]
	v_fma_f64 v[60:61], v[54:55], v[64:65], -v[4:5]
	v_mul_f64 v[48:49], v[54:55], v[66:67]
	ds_read2_b64 v[54:57], v187 offset0:112 offset1:202
	s_waitcnt vmcnt(21)
	v_mul_f64 v[4:5], v[140:141], v[82:83]
	v_mul_f64 v[52:53], v[50:51], v[82:83]
	v_fmac_f64_e32 v[48:49], v[132:133], v[64:65]
	v_fma_f64 v[64:65], v[50:51], v[80:81], -v[4:5]
	v_fmac_f64_e32 v[52:53], v[140:141], v[80:81]
	s_waitcnt vmcnt(20) lgkmcnt(0)
	v_mul_f64 v[4:5], v[54:55], v[78:79]
	v_mul_f64 v[132:133], v[44:45], v[78:79]
	ds_read2_b64 v[78:81], v203 offset0:104 offset1:194
	v_fma_f64 v[138:139], v[44:45], v[76:77], -v[4:5]
	s_waitcnt vmcnt(19)
	v_mul_f64 v[4:5], v[56:57], v[74:75]
	v_fmac_f64_e32 v[132:133], v[54:55], v[76:77]
	v_fma_f64 v[76:77], v[46:47], v[72:73], -v[4:5]
	s_waitcnt vmcnt(18) lgkmcnt(0)
	v_mul_f64 v[4:5], v[78:79], v[70:71]
	v_fma_f64 v[50:51], v[6:7], v[68:69], -v[4:5]
	v_mul_f64 v[54:55], v[6:7], v[70:71]
	global_load_dwordx4 v[4:7], v10, s[8:9] offset:432
	s_waitcnt vmcnt(18)
	v_mul_f64 v[44:45], v[80:81], v[86:87]
	v_mul_f64 v[62:63], v[46:47], v[74:75]
	v_fma_f64 v[44:45], v[8:9], v[84:85], -v[44:45]
	v_mul_f64 v[46:47], v[8:9], v[86:87]
	global_load_dwordx4 v[8:11], v10, s[8:9] offset:448
	v_fmac_f64_e32 v[62:63], v[56:57], v[72:73]
	ds_read2_b64 v[56:59], v202 offset0:118 offset1:208
	v_fmac_f64_e32 v[54:55], v[78:79], v[68:69]
	s_waitcnt vmcnt(18)
	v_mul_f64 v[72:73], v[40:41], v[90:91]
	v_fmac_f64_e32 v[46:47], v[80:81], v[84:85]
	ds_read2_b64 v[78:81], v186 offset0:108 offset1:198
	s_waitcnt lgkmcnt(1)
	v_mul_f64 v[66:67], v[56:57], v[90:91]
	v_fma_f64 v[82:83], v[40:41], v[88:89], -v[66:67]
	ds_read2_b64 v[66:69], v181 offset0:132 offset1:222
	s_waitcnt vmcnt(17)
	v_mul_f64 v[40:41], v[58:59], v[94:95]
	v_fmac_f64_e32 v[72:73], v[56:57], v[88:89]
	v_fma_f64 v[56:57], v[42:43], v[92:93], -v[40:41]
	v_mul_f64 v[40:41], v[42:43], v[94:95]
	s_waitcnt vmcnt(16) lgkmcnt(0)
	v_mul_f64 v[42:43], v[66:67], v[98:99]
	v_fma_f64 v[140:141], v[36:37], v[96:97], -v[42:43]
	v_mul_f64 v[94:95], v[36:37], v[98:99]
	s_waitcnt vmcnt(15)
	v_mul_f64 v[36:37], v[68:69], v[106:107]
	v_fmac_f64_e32 v[40:41], v[58:59], v[92:93]
	v_fma_f64 v[92:93], v[38:39], v[104:105], -v[36:37]
	v_mul_f64 v[36:37], v[38:39], v[106:107]
	v_fmac_f64_e32 v[36:37], v[68:69], v[104:105]
	ds_read2_b64 v[68:71], v190 offset0:160 offset1:250
	ds_read2_b64 v[86:89], v180 offset0:8 offset1:98
	v_fmac_f64_e32 v[94:95], v[66:67], v[96:97]
	s_waitcnt vmcnt(13)
	v_mul_f64 v[42:43], v[78:79], v[110:111]
	ds_read2_b64 v[96:99], v184 offset0:60 offset1:150
	v_fma_f64 v[66:67], v[32:33], v[108:109], -v[42:43]
	v_mul_f64 v[58:59], v[32:33], v[110:111]
	s_waitcnt vmcnt(12) lgkmcnt(2)
	v_mul_f64 v[32:33], v[68:69], v[114:115]
	v_fma_f64 v[32:33], v[28:29], v[112:113], -v[32:33]
	v_mul_f64 v[84:85], v[28:29], v[114:115]
	s_waitcnt vmcnt(11)
	v_mul_f64 v[28:29], v[70:71], v[146:147]
	v_mul_f64 v[38:39], v[80:81], v[102:103]
	v_fma_f64 v[28:29], v[30:31], v[144:145], -v[28:29]
	v_mul_f64 v[42:43], v[30:31], v[146:147]
	s_waitcnt vmcnt(10) lgkmcnt(1)
	v_mul_f64 v[30:31], v[88:89], v[154:155]
	v_fma_f64 v[38:39], v[34:35], v[100:101], -v[38:39]
	v_mul_f64 v[34:35], v[34:35], v[102:103]
	v_fmac_f64_e32 v[84:85], v[68:69], v[112:113]
	v_fma_f64 v[30:31], v[26:27], v[152:153], -v[30:31]
	v_mul_f64 v[26:27], v[26:27], v[154:155]
	s_waitcnt vmcnt(8)
	v_mul_f64 v[68:69], v[86:87], v[168:169]
	v_fmac_f64_e32 v[34:35], v[80:81], v[100:101]
	v_fmac_f64_e32 v[58:59], v[78:79], v[108:109]
	;; [unrolled: 1-line block ×4, first 2 shown]
	v_fma_f64 v[78:79], v[24:25], v[166:167], -v[68:69]
	v_mul_f64 v[68:69], v[24:25], v[168:169]
	s_waitcnt vmcnt(6) lgkmcnt(0)
	v_mul_f64 v[24:25], v[96:97], v[206:207]
	v_mul_f64 v[88:89], v[20:21], v[206:207]
	ds_read2_b64 v[100:103], v189 offset0:36 offset1:126
	v_mul_f64 v[70:71], v[22:23], v[210:211]
	v_fma_f64 v[24:25], v[20:21], v[204:205], -v[24:25]
	v_fmac_f64_e32 v[88:89], v[96:97], v[204:205]
	v_mul_f64 v[20:21], v[98:99], v[210:211]
	v_fmac_f64_e32 v[70:71], v[98:99], v[208:209]
	ds_read2_b64 v[96:99], v197 offset0:88 offset1:178
	s_waitcnt vmcnt(4) lgkmcnt(1)
	v_mul_f64 v[74:75], v[100:101], v[218:219]
	v_mul_f64 v[90:91], v[12:13], v[222:223]
	v_fmac_f64_e32 v[68:69], v[86:87], v[166:167]
	v_fma_f64 v[86:87], v[16:17], v[216:217], -v[74:75]
	v_mul_f64 v[80:81], v[16:17], v[218:219]
	s_waitcnt lgkmcnt(0)
	v_mul_f64 v[16:17], v[96:97], v[222:223]
	v_fmac_f64_e32 v[90:91], v[96:97], v[220:221]
	ds_read_b64 v[96:97], v200
	s_waitcnt vmcnt(3)
	v_mul_f64 v[74:75], v[14:15], v[226:227]
	v_fmac_f64_e32 v[80:81], v[100:101], v[216:217]
	v_fma_f64 v[16:17], v[12:13], v[220:221], -v[16:17]
	v_mul_f64 v[12:13], v[98:99], v[226:227]
	v_fmac_f64_e32 v[74:75], v[98:99], v[224:225]
	ds_read_b64 v[98:99], v199
	ds_read_b64 v[100:101], v185
	v_fma_f64 v[12:13], v[14:15], v[224:225], -v[12:13]
	v_fma_f64 v[20:21], v[22:23], v[208:209], -v[20:21]
	s_waitcnt vmcnt(1) lgkmcnt(2)
	v_mul_f64 v[14:15], v[96:97], v[6:7]
	v_fma_f64 v[104:105], v[126:127], v[4:5], -v[14:15]
	v_mul_f64 v[126:127], v[126:127], v[6:7]
	ds_read_b64 v[6:7], v201
	v_fmac_f64_e32 v[126:127], v[96:97], v[4:5]
	s_waitcnt vmcnt(0) lgkmcnt(2)
	v_mul_f64 v[4:5], v[98:99], v[10:11]
	v_fma_f64 v[4:5], v[124:125], v[8:9], -v[4:5]
	v_mul_f64 v[124:125], v[124:125], v[10:11]
	v_mul_f64 v[22:23], v[102:103], v[214:215]
	v_fmac_f64_e32 v[124:125], v[98:99], v[8:9]
	s_waitcnt lgkmcnt(0)
	v_mul_f64 v[8:9], v[6:7], v[2:3]
	v_mul_f64 v[10:11], v[122:123], v[2:3]
	v_fma_f64 v[22:23], v[18:19], v[212:213], -v[22:23]
	v_mul_f64 v[18:19], v[18:19], v[214:215]
	v_fma_f64 v[8:9], v[122:123], v[0:1], -v[8:9]
	v_fmac_f64_e32 v[10:11], v[6:7], v[0:1]
	v_add_f64 v[0:1], v[4:5], -v[134:135]
	v_add_f64 v[2:3], v[138:139], -v[136:137]
	v_fmac_f64_e32 v[18:19], v[102:103], v[212:213]
	v_add_f64 v[14:15], v[0:1], v[2:3]
	v_add_f64 v[0:1], v[8:9], -v[38:39]
	v_add_f64 v[2:3], v[22:23], -v[30:31]
	v_add_f64 v[96:97], v[0:1], v[2:3]
	v_add_f64 v[0:1], v[10:11], -v[34:35]
	v_add_f64 v[2:3], v[18:19], -v[26:27]
	v_add_f64 v[98:99], v[0:1], v[2:3]
	v_mul_u32_u24_e32 v0, 0x960, v142
	v_lshlrev_b32_sdwa v1, v162, v143 dst_sel:DWORD dst_unused:UNUSED_PAD src0_sel:DWORD src1_sel:BYTE_0
	v_add3_u32 v202, 0, v0, v1
	v_add_f64 v[0:1], v[134:135], v[136:137]
	v_add_f64 v[2:3], v[104:105], v[8:9]
	v_fma_f64 v[106:107], -0.5, v[0:1], v[120:121]
	v_add_f64 v[0:1], v[120:121], v[4:5]
	v_add_f64 v[2:3], v[2:3], v[38:39]
	;; [unrolled: 1-line block ×9, first 2 shown]
	v_fma_f64 v[142:143], -0.5, v[2:3], v[126:127]
	v_add_f64 v[166:167], v[8:9], -v[22:23]
	v_fma_f64 v[122:123], -0.5, v[0:1], v[104:105]
	v_add_f64 v[152:153], v[10:11], -v[18:19]
	v_add_f64 v[168:169], v[38:39], -v[30:31]
	v_fma_f64 v[2:3], s[14:15], v[166:167], v[142:143]
	v_add_f64 v[108:109], v[124:125], -v[132:133]
	v_fma_f64 v[0:1], s[20:21], v[152:153], v[122:123]
	v_add_f64 v[154:155], v[34:35], -v[26:27]
	v_fmac_f64_e32 v[2:3], s[12:13], v[168:169]
	v_fma_f64 v[110:111], s[20:21], v[108:109], v[106:107]
	v_add_f64 v[112:113], v[128:129], -v[130:131]
	v_fmac_f64_e32 v[0:1], s[18:19], v[154:155]
	v_fmac_f64_e32 v[2:3], s[0:1], v[98:99]
	;; [unrolled: 1-line block ×4, first 2 shown]
	v_mul_f64 v[204:205], v[2:3], s[18:19]
	v_fmac_f64_e32 v[110:111], s[0:1], v[14:15]
	v_fmac_f64_e32 v[204:205], s[22:23], v[0:1]
	v_add_f64 v[6:7], v[114:115], v[160:161]
	v_add_f64 v[146:147], v[110:111], v[204:205]
	ds_read_b64 v[144:145], v177
	ds_read_b64 v[102:103], v182
	s_waitcnt lgkmcnt(0)
	s_barrier
	ds_write2_b64 v202, v[6:7], v[146:147] offset1:30
	v_add_f64 v[6:7], v[4:5], v[138:139]
	v_fmac_f64_e32 v[120:121], -0.5, v[6:7]
	v_add_f64 v[6:7], v[134:135], -v[4:5]
	v_add_f64 v[146:147], v[136:137], -v[138:139]
	v_fma_f64 v[206:207], s[14:15], v[112:113], v[120:121]
	v_fmac_f64_e32 v[120:121], s[20:21], v[112:113]
	v_add_f64 v[6:7], v[6:7], v[146:147]
	v_fmac_f64_e32 v[206:207], s[18:19], v[108:109]
	v_fmac_f64_e32 v[120:121], s[12:13], v[108:109]
	;; [unrolled: 1-line block ×4, first 2 shown]
	v_add_f64 v[6:7], v[8:9], v[22:23]
	v_fmac_f64_e32 v[104:105], -0.5, v[6:7]
	v_add_f64 v[6:7], v[38:39], -v[8:9]
	v_add_f64 v[8:9], v[30:31], -v[22:23]
	v_fma_f64 v[146:147], s[14:15], v[154:155], v[104:105]
	v_fmac_f64_e32 v[104:105], s[20:21], v[154:155]
	v_add_f64 v[6:7], v[6:7], v[8:9]
	v_fmac_f64_e32 v[146:147], s[18:19], v[152:153]
	v_fmac_f64_e32 v[104:105], s[12:13], v[152:153]
	v_add_f64 v[8:9], v[10:11], v[18:19]
	v_fmac_f64_e32 v[146:147], s[0:1], v[6:7]
	v_fmac_f64_e32 v[104:105], s[0:1], v[6:7]
	v_add_f64 v[6:7], v[126:127], v[10:11]
	v_fmac_f64_e32 v[126:127], -0.5, v[8:9]
	v_add_f64 v[8:9], v[34:35], -v[10:11]
	v_add_f64 v[10:11], v[26:27], -v[18:19]
	v_fma_f64 v[148:149], s[20:21], v[168:169], v[126:127]
	v_add_f64 v[8:9], v[8:9], v[10:11]
	v_fmac_f64_e32 v[126:127], s[14:15], v[168:169]
	v_fmac_f64_e32 v[148:149], s[12:13], v[166:167]
	;; [unrolled: 1-line block ×5, first 2 shown]
	v_mul_f64 v[8:9], v[148:149], s[20:21]
	v_mul_f64 v[10:11], v[104:105], s[0:1]
	v_fmac_f64_e32 v[122:123], s[14:15], v[152:153]
	v_fmac_f64_e32 v[8:9], s[0:1], v[146:147]
	v_fma_f64 v[10:11], v[126:127], s[20:21], -v[10:11]
	v_fmac_f64_e32 v[122:123], s[12:13], v[154:155]
	v_fmac_f64_e32 v[142:143], s[20:21], v[166:167]
	v_add_f64 v[22:23], v[206:207], v[8:9]
	v_add_f64 v[30:31], v[120:121], v[10:11]
	v_fmac_f64_e32 v[106:107], s[14:15], v[108:109]
	v_fmac_f64_e32 v[122:123], s[0:1], v[96:97]
	;; [unrolled: 1-line block ×3, first 2 shown]
	ds_write2_b64 v202, v[22:23], v[30:31] offset0:60 offset1:90
	v_fmac_f64_e32 v[106:107], s[12:13], v[112:113]
	v_fmac_f64_e32 v[142:143], s[0:1], v[98:99]
	v_mul_f64 v[22:23], v[122:123], s[22:23]
	v_fmac_f64_e32 v[106:107], s[0:1], v[14:15]
	v_fma_f64 v[22:23], v[142:143], s[18:19], -v[22:23]
	v_add_f64 v[14:15], v[114:115], -v[160:161]
	v_add_f64 v[30:31], v[106:107], v[22:23]
	ds_write2_b64 v202, v[30:31], v[14:15] offset0:120 offset1:150
	v_add_f64 v[14:15], v[110:111], -v[204:205]
	v_add_f64 v[8:9], v[206:207], -v[8:9]
	ds_write2_b64 v202, v[14:15], v[8:9] offset0:180 offset1:210
	v_add_f64 v[8:9], v[120:121], -v[10:11]
	v_add_f64 v[10:11], v[106:107], -v[22:23]
	v_add_u32_e32 v203, 0x400, v202
	ds_write2_b64 v203, v[8:9], v[10:11] offset0:112 offset1:142
	v_add_f64 v[8:9], v[82:83], -v[60:61]
	v_add_f64 v[10:11], v[76:77], -v[64:65]
	v_add_f64 v[8:9], v[8:9], v[10:11]
	v_add_f64 v[10:11], v[140:141], -v[32:33]
	v_add_f64 v[14:15], v[16:17], -v[24:25]
	v_add_f64 v[10:11], v[10:11], v[14:15]
	v_add_f64 v[14:15], v[94:95], -v[84:85]
	v_add_f64 v[22:23], v[90:91], -v[88:89]
	v_add_f64 v[112:113], v[84:85], v[88:89]
	v_add_f64 v[14:15], v[14:15], v[22:23]
	v_lshlrev_b32_sdwa v22, v162, v151 dst_sel:DWORD dst_unused:UNUSED_PAD src0_sel:DWORD src1_sel:BYTE_0
	v_mul_u32_u24_e32 v23, 0x960, v150
	v_add_f64 v[106:107], v[32:33], v[24:25]
	v_fma_f64 v[152:153], -0.5, v[112:113], v[54:55]
	v_add_f64 v[112:113], v[140:141], -v[16:17]
	v_add3_u32 v228, 0, v23, v22
	v_add_f64 v[22:23], v[60:61], v[64:65]
	v_fma_f64 v[120:121], -0.5, v[106:107], v[50:51]
	v_add_f64 v[106:107], v[94:95], -v[90:91]
	v_add_f64 v[114:115], v[32:33], -v[24:25]
	v_fma_f64 v[154:155], s[14:15], v[112:113], v[152:153]
	v_fma_f64 v[22:23], -0.5, v[22:23], v[118:119]
	v_add_f64 v[30:31], v[72:73], -v[62:63]
	v_add_f64 v[98:99], v[118:119], v[82:83]
	v_fma_f64 v[150:151], s[20:21], v[106:107], v[120:121]
	v_add_f64 v[108:109], v[84:85], -v[88:89]
	v_add_f64 v[110:111], v[50:51], v[140:141]
	v_fmac_f64_e32 v[154:155], s[12:13], v[114:115]
	v_fma_f64 v[38:39], s[20:21], v[30:31], v[22:23]
	v_add_f64 v[96:97], v[48:49], -v[52:53]
	v_add_f64 v[98:99], v[98:99], v[60:61]
	v_fmac_f64_e32 v[150:151], s[18:19], v[108:109]
	v_add_f64 v[110:111], v[110:111], v[32:33]
	v_fmac_f64_e32 v[154:155], s[0:1], v[14:15]
	v_fmac_f64_e32 v[38:39], s[18:19], v[96:97]
	v_add_f64 v[98:99], v[98:99], v[64:65]
	v_fmac_f64_e32 v[150:151], s[0:1], v[10:11]
	v_add_f64 v[110:111], v[110:111], v[24:25]
	v_mul_f64 v[166:167], v[154:155], s[18:19]
	v_fmac_f64_e32 v[38:39], s[0:1], v[8:9]
	v_add_f64 v[98:99], v[98:99], v[76:77]
	v_add_f64 v[110:111], v[110:111], v[16:17]
	v_fmac_f64_e32 v[166:167], s[22:23], v[150:151]
	v_add_f64 v[160:161], v[98:99], v[110:111]
	v_add_f64 v[162:163], v[38:39], v[166:167]
	ds_write2_b64 v228, v[160:161], v[162:163] offset1:30
	v_add_f64 v[160:161], v[82:83], v[76:77]
	v_fmac_f64_e32 v[118:119], -0.5, v[160:161]
	v_add_f64 v[160:161], v[60:61], -v[82:83]
	v_add_f64 v[162:163], v[64:65], -v[76:77]
	v_fma_f64 v[168:169], s[14:15], v[96:97], v[118:119]
	v_fmac_f64_e32 v[118:119], s[20:21], v[96:97]
	v_add_f64 v[160:161], v[160:161], v[162:163]
	v_fmac_f64_e32 v[168:169], s[18:19], v[30:31]
	v_fmac_f64_e32 v[118:119], s[12:13], v[30:31]
	v_fmac_f64_e32 v[168:169], s[0:1], v[160:161]
	v_fmac_f64_e32 v[118:119], s[0:1], v[160:161]
	v_add_f64 v[160:161], v[140:141], v[16:17]
	v_fmac_f64_e32 v[50:51], -0.5, v[160:161]
	v_add_f64 v[32:33], v[32:33], -v[140:141]
	v_add_f64 v[16:17], v[24:25], -v[16:17]
	v_fma_f64 v[140:141], s[14:15], v[108:109], v[50:51]
	v_fmac_f64_e32 v[50:51], s[20:21], v[108:109]
	v_add_f64 v[16:17], v[32:33], v[16:17]
	v_fmac_f64_e32 v[140:141], s[18:19], v[106:107]
	v_fmac_f64_e32 v[50:51], s[12:13], v[106:107]
	;; [unrolled: 1-line block ×4, first 2 shown]
	v_add_f64 v[16:17], v[94:95], v[90:91]
	v_add_f64 v[160:161], v[54:55], v[94:95]
	v_fmac_f64_e32 v[54:55], -0.5, v[16:17]
	v_fmac_f64_e32 v[120:121], s[14:15], v[106:107]
	v_add_f64 v[16:17], v[84:85], -v[94:95]
	v_add_f64 v[24:25], v[88:89], -v[90:91]
	v_fma_f64 v[162:163], s[20:21], v[114:115], v[54:55]
	v_fmac_f64_e32 v[120:121], s[12:13], v[108:109]
	v_fmac_f64_e32 v[152:153], s[20:21], v[112:113]
	v_add_f64 v[16:17], v[16:17], v[24:25]
	v_fmac_f64_e32 v[54:55], s[14:15], v[114:115]
	v_fmac_f64_e32 v[162:163], s[12:13], v[112:113]
	;; [unrolled: 1-line block ×9, first 2 shown]
	v_mul_f64 v[10:11], v[120:121], s[22:23]
	v_fmac_f64_e32 v[54:55], s[0:1], v[16:17]
	v_mul_f64 v[16:17], v[162:163], s[20:21]
	v_fmac_f64_e32 v[22:23], s[0:1], v[8:9]
	v_fma_f64 v[10:11], v[152:153], s[18:19], -v[10:11]
	v_fmac_f64_e32 v[16:17], s[0:1], v[140:141]
	v_mul_f64 v[24:25], v[50:51], s[0:1]
	v_add_f64 v[8:9], v[98:99], -v[110:111]
	v_add_f64 v[14:15], v[22:23], v[10:11]
	v_fma_f64 v[24:25], v[54:55], s[20:21], -v[24:25]
	ds_write2_b64 v228, v[14:15], v[8:9] offset0:120 offset1:150
	v_add_f64 v[8:9], v[38:39], -v[166:167]
	v_add_f64 v[14:15], v[168:169], -v[16:17]
	ds_write2_b64 v228, v[8:9], v[14:15] offset0:180 offset1:210
	v_add_f64 v[8:9], v[118:119], -v[24:25]
	v_add_f64 v[10:11], v[22:23], -v[10:11]
	v_add_u32_e32 v229, 0x400, v228
	ds_write2_b64 v229, v[8:9], v[10:11] offset0:112 offset1:142
	v_add_f64 v[8:9], v[56:57], -v[66:67]
	v_add_f64 v[10:11], v[86:87], -v[78:79]
	v_add_f64 v[8:9], v[8:9], v[10:11]
	v_add_f64 v[10:11], v[92:93], -v[28:29]
	v_add_f64 v[14:15], v[12:13], -v[20:21]
	v_add_f64 v[32:33], v[168:169], v[16:17]
	v_add_f64 v[10:11], v[10:11], v[14:15]
	v_add_f64 v[14:15], v[36:37], -v[42:43]
	v_add_f64 v[16:17], v[74:75], -v[70:71]
	v_add_f64 v[98:99], v[42:43], v[70:71]
	v_add_f64 v[14:15], v[14:15], v[16:17]
	v_mul_u32_u24_e32 v16, 0x960, v164
	v_lshlrev_b32_e32 v17, 3, v165
	v_add_f64 v[38:39], v[28:29], v[20:21]
	v_fma_f64 v[168:169], -0.5, v[98:99], v[46:47]
	v_add_f64 v[98:99], v[92:93], -v[12:13]
	v_add_f64 v[94:95], v[118:119], v[24:25]
	v_add3_u32 v230, 0, v16, v17
	v_add_f64 v[16:17], v[66:67], v[78:79]
	v_fma_f64 v[164:165], -0.5, v[38:39], v[44:45]
	v_add_f64 v[38:39], v[36:37], -v[74:75]
	v_add_f64 v[106:107], v[28:29], -v[20:21]
	v_fma_f64 v[204:205], s[14:15], v[98:99], v[168:169]
	ds_write2_b64 v228, v[32:33], v[94:95] offset0:60 offset1:90
	v_fma_f64 v[16:17], -0.5, v[16:17], v[116:117]
	v_add_f64 v[22:23], v[40:41], -v[80:81]
	v_add_f64 v[32:33], v[116:117], v[56:57]
	v_fma_f64 v[166:167], s[20:21], v[38:39], v[164:165]
	v_add_f64 v[94:95], v[42:43], -v[70:71]
	v_add_f64 v[96:97], v[44:45], v[92:93]
	v_fmac_f64_e32 v[204:205], s[12:13], v[106:107]
	v_fma_f64 v[24:25], s[20:21], v[22:23], v[16:17]
	v_add_f64 v[30:31], v[58:59], -v[68:69]
	v_add_f64 v[32:33], v[32:33], v[66:67]
	v_fmac_f64_e32 v[166:167], s[18:19], v[94:95]
	v_add_f64 v[96:97], v[96:97], v[28:29]
	v_fmac_f64_e32 v[204:205], s[0:1], v[14:15]
	v_fmac_f64_e32 v[24:25], s[18:19], v[30:31]
	v_add_f64 v[32:33], v[32:33], v[78:79]
	v_fmac_f64_e32 v[166:167], s[0:1], v[10:11]
	v_add_f64 v[96:97], v[96:97], v[20:21]
	v_mul_f64 v[108:109], v[204:205], s[18:19]
	v_fmac_f64_e32 v[24:25], s[0:1], v[8:9]
	v_add_f64 v[32:33], v[32:33], v[86:87]
	v_add_f64 v[96:97], v[96:97], v[12:13]
	v_fmac_f64_e32 v[108:109], s[22:23], v[166:167]
	v_add_f64 v[110:111], v[32:33], v[96:97]
	v_add_f64 v[112:113], v[24:25], v[108:109]
	ds_write2_b64 v230, v[110:111], v[112:113] offset1:30
	v_add_f64 v[110:111], v[56:57], v[86:87]
	v_fmac_f64_e32 v[116:117], -0.5, v[110:111]
	v_add_f64 v[110:111], v[66:67], -v[56:57]
	v_add_f64 v[112:113], v[78:79], -v[86:87]
	v_add_f64 v[110:111], v[110:111], v[112:113]
	v_fma_f64 v[112:113], s[14:15], v[30:31], v[116:117]
	v_fmac_f64_e32 v[116:117], s[20:21], v[30:31]
	v_fmac_f64_e32 v[112:113], s[18:19], v[22:23]
	;; [unrolled: 1-line block ×5, first 2 shown]
	v_add_f64 v[110:111], v[92:93], v[12:13]
	v_fmac_f64_e32 v[44:45], -0.5, v[110:111]
	v_add_f64 v[28:29], v[28:29], -v[92:93]
	v_add_f64 v[12:13], v[20:21], -v[12:13]
	v_fma_f64 v[92:93], s[14:15], v[94:95], v[44:45]
	v_fmac_f64_e32 v[44:45], s[20:21], v[94:95]
	v_add_f64 v[12:13], v[28:29], v[12:13]
	v_fmac_f64_e32 v[92:93], s[18:19], v[38:39]
	v_fmac_f64_e32 v[44:45], s[12:13], v[38:39]
	;; [unrolled: 1-line block ×4, first 2 shown]
	v_add_f64 v[12:13], v[36:37], v[74:75]
	v_add_f64 v[206:207], v[46:47], v[36:37]
	v_fmac_f64_e32 v[46:47], -0.5, v[12:13]
	v_fmac_f64_e32 v[164:165], s[14:15], v[38:39]
	v_add_f64 v[12:13], v[42:43], -v[36:37]
	v_add_f64 v[20:21], v[70:71], -v[74:75]
	v_fma_f64 v[208:209], s[20:21], v[106:107], v[46:47]
	v_fmac_f64_e32 v[164:165], s[12:13], v[94:95]
	v_fmac_f64_e32 v[168:169], s[20:21], v[98:99]
	v_add_f64 v[12:13], v[12:13], v[20:21]
	v_fmac_f64_e32 v[46:47], s[14:15], v[106:107]
	v_fmac_f64_e32 v[208:209], s[12:13], v[98:99]
	;; [unrolled: 1-line block ×9, first 2 shown]
	v_mul_f64 v[10:11], v[164:165], s[22:23]
	v_fmac_f64_e32 v[46:47], s[0:1], v[12:13]
	v_mul_f64 v[12:13], v[208:209], s[20:21]
	v_fmac_f64_e32 v[16:17], s[0:1], v[8:9]
	v_fma_f64 v[10:11], v[168:169], s[18:19], -v[10:11]
	v_fmac_f64_e32 v[12:13], s[0:1], v[92:93]
	v_mul_f64 v[20:21], v[44:45], s[0:1]
	v_add_f64 v[8:9], v[32:33], -v[96:97]
	v_add_f64 v[14:15], v[16:17], v[10:11]
	v_fma_f64 v[20:21], v[46:47], s[20:21], -v[20:21]
	v_add_f64 v[28:29], v[112:113], v[12:13]
	ds_write2_b64 v230, v[14:15], v[8:9] offset0:120 offset1:150
	v_add_f64 v[8:9], v[24:25], -v[108:109]
	v_add_f64 v[12:13], v[112:113], -v[12:13]
	ds_write2_b64 v230, v[8:9], v[12:13] offset0:180 offset1:210
	v_add_f64 v[8:9], v[116:117], -v[20:21]
	v_add_f64 v[10:11], v[16:17], -v[10:11]
	v_add_u32_e32 v231, 0x400, v230
	v_mul_f64 v[216:217], v[0:1], s[12:13]
	v_add_f64 v[0:1], v[128:129], v[130:131]
	ds_write2_b64 v231, v[8:9], v[10:11] offset0:112 offset1:142
	v_add_f64 v[138:139], v[4:5], -v[138:139]
	v_add_f64 v[4:5], v[124:125], -v[128:129]
	v_add_f64 v[8:9], v[132:133], -v[130:131]
	v_fma_f64 v[218:219], -0.5, v[0:1], v[144:145]
	v_add_f64 v[0:1], v[144:145], v[124:125]
	v_add_f64 v[210:211], v[134:135], -v[136:137]
	v_add_f64 v[212:213], v[4:5], v[8:9]
	v_add_f64 v[4:5], v[6:7], v[34:35]
	v_fma_f64 v[220:221], s[14:15], v[138:139], v[218:219]
	v_add_f64 v[0:1], v[0:1], v[128:129]
	v_add_f64 v[4:5], v[4:5], v[26:27]
	v_fmac_f64_e32 v[220:221], s[12:13], v[210:211]
	v_add_f64 v[0:1], v[0:1], v[130:131]
	v_add_f64 v[76:77], v[82:83], -v[76:77]
	v_add_f64 v[60:61], v[60:61], -v[64:65]
	;; [unrolled: 1-line block ×4, first 2 shown]
	v_add_f64 v[214:215], v[4:5], v[18:19]
	v_fmac_f64_e32 v[216:217], s[22:23], v[2:3]
	v_fmac_f64_e32 v[220:221], s[0:1], v[212:213]
	v_add_f64 v[222:223], v[0:1], v[132:133]
	v_add_f64 v[64:65], v[64:65], v[82:83]
	;; [unrolled: 1-line block ×6, first 2 shown]
	v_fma_f64 v[82:83], -0.5, v[82:83], v[102:103]
	ds_write2_b64 v230, v[28:29], v[36:37] offset0:60 offset1:90
	s_waitcnt lgkmcnt(0)
	s_barrier
	v_lshl_add_u32 v134, v172, 3, 0
	v_lshl_add_u32 v135, v173, 3, 0
	;; [unrolled: 1-line block ×4, first 2 shown]
	ds_read_b64 v[118:119], v177
	ds_read_b64 v[116:117], v182
	;; [unrolled: 1-line block ×10, first 2 shown]
	ds_read2_b64 v[36:39], v181 offset0:132 offset1:222
	ds_read2_b64 v[32:35], v180 offset0:8 offset1:98
	;; [unrolled: 1-line block ×10, first 2 shown]
	s_waitcnt lgkmcnt(0)
	s_barrier
	ds_write2_b64 v202, v[224:225], v[226:227] offset1:30
	v_add_f64 v[224:225], v[124:125], v[132:133]
	v_add_f64 v[124:125], v[128:129], -v[124:125]
	v_add_f64 v[128:129], v[130:131], -v[132:133]
	v_fma_f64 v[132:133], s[14:15], v[76:77], v[82:83]
	v_fmac_f64_e32 v[82:83], s[20:21], v[76:77]
	v_fmac_f64_e32 v[144:145], -0.5, v[224:225]
	v_fmac_f64_e32 v[132:133], s[12:13], v[60:61]
	v_fmac_f64_e32 v[82:83], s[18:19], v[60:61]
	v_add_f64 v[124:125], v[124:125], v[128:129]
	v_fma_f64 v[128:129], s[20:21], v[210:211], v[144:145]
	v_fmac_f64_e32 v[144:145], s[14:15], v[210:211]
	v_fmac_f64_e32 v[132:133], s[0:1], v[64:65]
	;; [unrolled: 1-line block ×3, first 2 shown]
	v_add_f64 v[64:65], v[102:103], v[72:73]
	v_fmac_f64_e32 v[128:129], s[12:13], v[138:139]
	v_fmac_f64_e32 v[144:145], s[18:19], v[138:139]
	;; [unrolled: 1-line block ×3, first 2 shown]
	v_add_f64 v[138:139], v[72:73], v[62:63]
	v_add_f64 v[64:65], v[64:65], v[48:49]
	v_fmac_f64_e32 v[102:103], -0.5, v[138:139]
	v_add_f64 v[48:49], v[48:49], -v[72:73]
	v_add_f64 v[64:65], v[64:65], v[52:53]
	v_add_f64 v[52:53], v[52:53], -v[62:63]
	v_mul_f64 v[54:55], v[54:55], s[0:1]
	v_add_f64 v[48:49], v[48:49], v[52:53]
	v_fma_f64 v[52:53], s[20:21], v[60:61], v[102:103]
	v_fmac_f64_e32 v[102:103], s[14:15], v[60:61]
	v_fma_f64 v[50:51], v[50:51], s[14:15], -v[54:55]
	v_mul_f64 v[54:55], v[152:153], s[22:23]
	v_fmac_f64_e32 v[52:53], s[12:13], v[76:77]
	v_fmac_f64_e32 v[102:103], s[18:19], v[76:77]
	v_fma_f64 v[54:55], v[120:121], s[12:13], -v[54:55]
	v_fmac_f64_e32 v[52:53], s[0:1], v[48:49]
	v_fmac_f64_e32 v[102:103], s[0:1], v[48:49]
	v_add_f64 v[48:49], v[160:161], v[84:85]
	v_add_f64 v[84:85], v[82:83], v[54:55]
	v_add_f64 v[54:55], v[82:83], -v[54:55]
	v_add_f64 v[66:67], v[66:67], -v[78:79]
	;; [unrolled: 1-line block ×4, first 2 shown]
	v_add_f64 v[78:79], v[78:79], v[82:83]
	v_add_f64 v[82:83], v[58:59], v[68:69]
	v_add_f64 v[56:57], v[56:57], -v[86:87]
	v_fma_f64 v[82:83], -0.5, v[82:83], v[100:101]
	v_fma_f64 v[86:87], s[14:15], v[56:57], v[82:83]
	v_fmac_f64_e32 v[82:83], s[20:21], v[56:57]
	v_fmac_f64_e32 v[86:87], s[12:13], v[66:67]
	;; [unrolled: 1-line block ×5, first 2 shown]
	v_add_f64 v[78:79], v[100:101], v[40:41]
	v_add_f64 v[48:49], v[48:49], v[88:89]
	;; [unrolled: 1-line block ×4, first 2 shown]
	v_fmac_f64_e32 v[100:101], -0.5, v[88:89]
	v_add_f64 v[40:41], v[58:59], -v[40:41]
	v_add_f64 v[58:59], v[78:79], v[68:69]
	v_add_f64 v[68:69], v[68:69], -v[80:81]
	v_fmac_f64_e32 v[128:129], s[0:1], v[124:125]
	v_fmac_f64_e32 v[144:145], s[0:1], v[124:125]
	v_mul_f64 v[124:125], v[146:147], s[14:15]
	v_mul_f64 v[126:127], v[126:127], s[0:1]
	v_add_f64 v[40:41], v[40:41], v[68:69]
	v_fma_f64 v[68:69], s[20:21], v[66:67], v[100:101]
	v_fmac_f64_e32 v[100:101], s[14:15], v[66:67]
	v_fmac_f64_e32 v[124:125], s[0:1], v[148:149]
	v_fma_f64 v[104:105], v[104:105], s[14:15], -v[126:127]
	v_fmac_f64_e32 v[68:69], s[12:13], v[56:57]
	v_fmac_f64_e32 v[100:101], s[18:19], v[56:57]
	v_add_f64 v[126:127], v[128:129], v[124:125]
	v_add_f64 v[130:131], v[144:145], v[104:105]
	v_fmac_f64_e32 v[68:69], s[0:1], v[40:41]
	v_fmac_f64_e32 v[100:101], s[0:1], v[40:41]
	v_add_f64 v[40:41], v[206:207], v[42:43]
	ds_write2_b64 v202, v[126:127], v[130:131] offset0:60 offset1:90
	v_fmac_f64_e32 v[218:219], s[18:19], v[210:211]
	v_mul_f64 v[126:127], v[142:143], s[22:23]
	v_add_f64 v[40:41], v[40:41], v[70:71]
	v_mul_f64 v[56:57], v[92:93], s[14:15]
	v_mul_f64 v[46:47], v[46:47], s[0:1]
	v_fmac_f64_e32 v[218:219], s[0:1], v[212:213]
	v_fma_f64 v[122:123], v[122:123], s[12:13], -v[126:127]
	v_add_f64 v[64:65], v[64:65], v[62:63]
	v_mul_f64 v[60:61], v[150:151], s[12:13]
	v_mul_f64 v[62:63], v[140:141], s[14:15]
	v_add_f64 v[58:59], v[58:59], v[80:81]
	v_add_f64 v[40:41], v[40:41], v[74:75]
	v_mul_f64 v[42:43], v[166:167], s[12:13]
	v_fmac_f64_e32 v[56:57], s[0:1], v[208:209]
	v_fma_f64 v[44:45], v[44:45], s[14:15], -v[46:47]
	v_mul_f64 v[46:47], v[168:169], s[22:23]
	v_lshlrev_b32_e32 v92, 1, v170
	v_mov_b32_e32 v93, 0
	v_add_f64 v[126:127], v[222:223], -v[214:215]
	v_add_f64 v[124:125], v[128:129], -v[124:125]
	v_add_f64 v[128:129], v[218:219], v[122:123]
	v_add_f64 v[48:49], v[48:49], v[90:91]
	v_fmac_f64_e32 v[60:61], s[22:23], v[154:155]
	v_fmac_f64_e32 v[62:63], s[0:1], v[162:163]
	;; [unrolled: 1-line block ×3, first 2 shown]
	s_movk_i32 s14, 0x1000
	v_fma_f64 v[46:47], v[164:165], s[12:13], -v[46:47]
	v_add_f64 v[66:67], v[58:59], v[40:41]
	v_add_f64 v[40:41], v[58:59], -v[40:41]
	v_add_f64 v[70:71], v[68:69], v[56:57]
	v_add_f64 v[56:57], v[68:69], -v[56:57]
	;; [unrolled: 2-line block ×3, first 2 shown]
	v_lshl_add_u64 v[100:101], v[92:93], 4, s[8:9]
	v_add_f64 v[130:131], v[220:221], -v[216:217]
	v_add_f64 v[104:105], v[144:145], -v[104:105]
	;; [unrolled: 1-line block ×3, first 2 shown]
	v_add_f64 v[72:73], v[64:65], v[48:49]
	v_add_f64 v[48:49], v[64:65], -v[48:49]
	v_add_f64 v[64:65], v[132:133], v[60:61]
	v_add_f64 v[60:61], v[132:133], -v[60:61]
	;; [unrolled: 2-line block ×6, first 2 shown]
	ds_write2_b64 v202, v[128:129], v[126:127] offset0:120 offset1:150
	ds_write2_b64 v202, v[130:131], v[124:125] offset0:180 offset1:210
	;; [unrolled: 1-line block ×3, first 2 shown]
	ds_write2_b64 v228, v[72:73], v[64:65] offset1:30
	ds_write2_b64 v228, v[76:77], v[62:63] offset0:60 offset1:90
	ds_write2_b64 v228, v[84:85], v[48:49] offset0:120 offset1:150
	;; [unrolled: 1-line block ×4, first 2 shown]
	ds_write2_b64 v230, v[66:67], v[58:59] offset1:30
	ds_write2_b64 v230, v[70:71], v[68:69] offset0:60 offset1:90
	ds_write2_b64 v230, v[74:75], v[40:41] offset0:120 offset1:150
	ds_write2_b64 v230, v[42:43], v[56:57] offset0:180 offset1:210
	ds_write2_b64 v231, v[44:45], v[46:47] offset0:112 offset1:142
	v_add_co_u32_e64 v40, s[0:1], s14, v100
	s_waitcnt lgkmcnt(0)
	s_nop 0
	v_addc_co_u32_e64 v41, s[0:1], 0, v101, s[0:1]
	s_barrier
	global_load_dwordx4 v[44:47], v[40:41], off offset:656
	v_lshlrev_b32_e32 v42, 1, v191
	v_mov_b32_e32 v43, v93
	v_lshl_add_u64 v[102:103], v[42:43], 4, s[8:9]
	s_mov_b64 s[12:13], 0x1290
	v_add_co_u32_e64 v56, s[0:1], s14, v102
	v_lshl_add_u64 v[40:41], v[100:101], 0, s[12:13]
	s_nop 0
	v_addc_co_u32_e64 v57, s[0:1], 0, v103, s[0:1]
	global_load_dwordx4 v[40:43], v[40:41], off offset:16
	v_lshl_add_u64 v[58:59], v[102:103], 0, s[12:13]
	global_load_dwordx4 v[52:55], v[56:57], off offset:656
	global_load_dwordx4 v[48:51], v[58:59], off offset:16
	v_lshlrev_b32_e32 v56, 1, v192
	v_mov_b32_e32 v57, v93
	v_lshl_add_u64 v[104:105], v[56:57], 4, s[8:9]
	v_add_co_u32_e64 v56, s[0:1], s14, v104
	v_subrev_u32_e32 v64, 30, v170
	s_nop 0
	v_addc_co_u32_e64 v57, s[0:1], 0, v105, s[0:1]
	v_cmp_gt_u32_e64 s[0:1], 30, v170
	v_lshl_add_u64 v[60:61], v[104:105], 0, s[12:13]
	v_mov_b32_e32 v65, v93
	v_cndmask_b32_e64 v122, v64, v171, s[0:1]
	v_lshlrev_b32_e32 v64, 1, v122
	global_load_dwordx4 v[56:59], v[56:57], off offset:656
	s_nop 0
	global_load_dwordx4 v[60:63], v[60:61], off offset:16
	v_lshl_add_u64 v[64:65], v[64:65], 4, s[8:9]
	v_lshl_add_u64 v[68:69], v[64:65], 0, s[12:13]
	v_add_co_u32_e64 v64, s[0:1], s14, v64
	v_add_u32_e32 v72, 0x78, v92
	v_mov_b32_e32 v73, v93
	v_add_u32_e32 v92, 0x12c, v92
	v_addc_co_u32_e64 v65, s[0:1], 0, v65, s[0:1]
	v_lshl_add_u64 v[72:73], v[72:73], 4, s[8:9]
	v_lshl_add_u64 v[80:81], v[92:93], 4, s[8:9]
	v_lshrrev_b16_e32 v92, 2, v174
	v_add_co_u32_e64 v74, s[0:1], s14, v72
	v_mul_u32_u24_e32 v92, 0x6d3b, v92
	global_load_dwordx4 v[64:67], v[64:65], off offset:656
	s_nop 0
	global_load_dwordx4 v[68:71], v[68:69], off offset:16
	v_addc_co_u32_e64 v75, s[0:1], 0, v73, s[0:1]
	v_lshl_add_u64 v[72:73], v[72:73], 0, s[12:13]
	v_lshrrev_b32_e32 v123, 21, v92
	global_load_dwordx4 v[76:79], v[74:75], off offset:656
	s_nop 0
	global_load_dwordx4 v[72:75], v[72:73], off offset:16
	ds_read2_b64 v[88:91], v181 offset0:132 offset1:222
	v_mul_lo_u16_e32 v92, 0x12c, v123
	v_sub_u16_e32 v124, v174, v92
	v_lshlrev_b32_e32 v92, 5, v124
	v_lshl_add_u64 v[126:127], s[8:9], 0, v[92:93]
	v_lshrrev_b16_e32 v92, 2, v175
	v_add_co_u32_e64 v82, s[0:1], s14, v80
	v_mul_u32_u24_e32 v92, 0x6d3b, v92
	s_nop 0
	v_addc_co_u32_e64 v83, s[0:1], 0, v81, s[0:1]
	v_lshl_add_u64 v[80:81], v[80:81], 0, s[12:13]
	v_lshrrev_b32_e32 v92, 21, v92
	v_mul_lo_u16_e32 v92, 0x12c, v92
	v_sub_u16_e32 v125, v175, v92
	v_lshlrev_b32_e32 v92, 5, v125
	v_add_co_u32_e64 v128, s[0:1], s14, v126
	v_lshl_add_u64 v[132:133], s[8:9], 0, v[92:93]
	v_lshrrev_b16_e32 v92, 2, v176
	v_addc_co_u32_e64 v129, s[0:1], 0, v127, s[0:1]
	v_mul_u32_u24_e32 v92, 0x6d3b, v92
	v_add_co_u32_e64 v142, s[0:1], s14, v132
	v_lshl_add_u64 v[126:127], v[126:127], 0, s[12:13]
	v_lshrrev_b32_e32 v92, 21, v92
	v_addc_co_u32_e64 v143, s[0:1], 0, v133, s[0:1]
	v_mul_lo_u16_e32 v92, 0x12c, v92
	s_waitcnt vmcnt(9) lgkmcnt(0)
	v_mul_f64 v[84:85], v[88:89], v[46:47]
	v_fma_f64 v[120:121], v[36:37], v[44:45], -v[84:85]
	global_load_dwordx4 v[84:87], v[82:83], off offset:656
	s_nop 0
	global_load_dwordx4 v[80:83], v[80:81], off offset:16
	s_nop 0
	;; [unrolled: 2-line block ×3, first 2 shown]
	global_load_dwordx4 v[138:141], v[126:127], off offset:16
	v_lshl_add_u64 v[126:127], v[132:133], 0, s[12:13]
	global_load_dwordx4 v[142:145], v[142:143], off offset:656
	s_nop 0
	global_load_dwordx4 v[146:149], v[126:127], off offset:16
	v_sub_u16_e32 v126, v176, v92
	v_lshlrev_b32_e32 v92, 5, v126
	v_lshl_add_u64 v[132:133], s[8:9], 0, v[92:93]
	v_lshrrev_b16_e32 v92, 2, v179
	v_mul_u32_u24_e32 v92, 0x6d3b, v92
	v_add_co_u32_e64 v150, s[0:1], s14, v132
	v_lshrrev_b32_e32 v92, 21, v92
	s_nop 0
	v_addc_co_u32_e64 v151, s[0:1], 0, v133, s[0:1]
	v_mul_lo_u16_e32 v92, 0x12c, v92
	global_load_dwordx4 v[150:153], v[150:151], off offset:656
	v_sub_u16_e32 v127, v179, v92
	v_lshlrev_b32_e32 v92, 5, v127
	v_lshl_add_u64 v[154:155], s[8:9], 0, v[92:93]
	v_add_co_u32_e64 v160, s[0:1], s14, v154
	v_mul_f64 v[168:169], v[36:37], v[46:47]
	s_nop 0
	v_addc_co_u32_e64 v161, s[0:1], 0, v155, s[0:1]
	global_load_dwordx4 v[160:163], v[160:161], off offset:656
	v_lshl_add_u64 v[36:37], v[132:133], 0, s[12:13]
	v_fmac_f64_e32 v[168:169], v[88:89], v[44:45]
	global_load_dwordx4 v[164:167], v[36:37], off offset:16
	v_lshl_add_u64 v[88:89], v[154:155], 0, s[12:13]
	global_load_dwordx4 v[202:205], v[88:89], off offset:16
	ds_read2_b64 v[44:47], v180 offset0:8 offset1:98
	s_waitcnt vmcnt(17)
	v_mul_f64 v[36:37], v[90:91], v[54:55]
	v_fma_f64 v[132:133], v[38:39], v[52:53], -v[36:37]
	v_mul_f64 v[154:155], v[38:39], v[54:55]
	v_mul_f64 v[208:209], v[32:33], v[42:43]
	s_waitcnt lgkmcnt(0)
	v_mul_f64 v[36:37], v[44:45], v[42:43]
	v_fma_f64 v[206:207], v[32:33], v[40:41], -v[36:37]
	ds_read2_b64 v[36:39], v183 offset0:56 offset1:146
	s_waitcnt vmcnt(16)
	v_mul_f64 v[32:33], v[46:47], v[50:51]
	v_fma_f64 v[210:211], v[34:35], v[48:49], -v[32:33]
	v_mul_f64 v[212:213], v[34:35], v[50:51]
	ds_read2_b64 v[32:35], v184 offset0:60 offset1:150
	v_fmac_f64_e32 v[208:209], v[44:45], v[40:41]
	s_waitcnt vmcnt(15) lgkmcnt(1)
	v_mul_f64 v[40:41], v[36:37], v[58:59]
	v_fma_f64 v[214:215], v[28:29], v[56:57], -v[40:41]
	ds_read2_b64 v[40:43], v186 offset0:108 offset1:198
	v_mul_f64 v[216:217], v[28:29], v[58:59]
	s_waitcnt vmcnt(14) lgkmcnt(1)
	v_mul_f64 v[28:29], v[32:33], v[62:63]
	v_fma_f64 v[218:219], v[24:25], v[60:61], -v[28:29]
	v_mul_f64 v[220:221], v[24:25], v[62:63]
	s_waitcnt vmcnt(13)
	v_mul_f64 v[24:25], v[38:39], v[66:67]
	v_fma_f64 v[62:63], v[30:31], v[64:65], -v[24:25]
	s_waitcnt vmcnt(12)
	v_mul_f64 v[24:25], v[34:35], v[70:71]
	v_fma_f64 v[88:89], v[26:27], v[68:69], -v[24:25]
	s_waitcnt vmcnt(11) lgkmcnt(0)
	v_mul_f64 v[24:25], v[40:41], v[78:79]
	v_fmac_f64_e32 v[154:155], v[90:91], v[52:53]
	v_mul_f64 v[90:91], v[26:27], v[70:71]
	v_fma_f64 v[54:55], v[20:21], v[76:77], -v[24:25]
	ds_read2_b64 v[24:27], v187 offset0:112 offset1:202
	v_mul_f64 v[58:59], v[20:21], v[78:79]
	v_fmac_f64_e32 v[212:213], v[46:47], v[48:49]
	v_mul_f64 v[66:67], v[30:31], v[66:67]
	v_fmac_f64_e32 v[66:67], v[38:39], v[64:65]
	v_fmac_f64_e32 v[216:217], v[36:37], v[56:57]
	;; [unrolled: 1-line block ×3, first 2 shown]
	s_waitcnt vmcnt(10)
	v_mul_f64 v[68:69], v[16:17], v[74:75]
	v_fmac_f64_e32 v[220:221], v[32:33], v[60:61]
	v_fmac_f64_e32 v[58:59], v[40:41], v[76:77]
	s_waitcnt lgkmcnt(0)
	v_fmac_f64_e32 v[68:69], v[24:25], v[72:73]
	v_add_f64 v[44:45], v[168:169], v[208:209]
	v_add_f64 v[50:51], v[120:121], -v[206:207]
	v_add_f64 v[70:71], v[116:117], v[132:133]
	v_add_f64 v[76:77], v[216:217], v[220:221]
	v_add_f64 v[78:79], v[66:67], -v[90:91]
	v_cmp_lt_u32_e64 s[0:1], 29, v170
	s_movk_i32 s12, 0x3000
	s_waitcnt vmcnt(9)
	v_mul_f64 v[20:21], v[42:43], v[86:87]
	v_fma_f64 v[48:49], v[22:23], v[84:85], -v[20:21]
	v_mul_f64 v[20:21], v[24:25], v[74:75]
	v_mul_f64 v[52:53], v[22:23], v[86:87]
	v_fma_f64 v[64:65], v[16:17], v[72:73], -v[20:21]
	ds_read2_b64 v[20:23], v190 offset0:160 offset1:250
	s_waitcnt vmcnt(8)
	v_mul_f64 v[16:17], v[26:27], v[82:83]
	s_waitcnt vmcnt(7)
	v_mul_f64 v[36:37], v[12:13], v[130:131]
	v_fma_f64 v[56:57], v[18:19], v[80:81], -v[16:17]
	v_mul_f64 v[60:61], v[18:19], v[82:83]
	s_waitcnt lgkmcnt(0)
	v_mul_f64 v[16:17], v[20:21], v[130:131]
	v_fmac_f64_e32 v[36:37], v[20:21], v[128:129]
	ds_read2_b64 v[18:21], v189 offset0:36 offset1:126
	v_fmac_f64_e32 v[60:61], v[26:27], v[80:81]
	ds_read2_b64 v[26:29], v196 offset0:84 offset1:174
	v_fma_f64 v[30:31], v[12:13], v[128:129], -v[16:17]
	s_waitcnt vmcnt(5)
	v_mul_f64 v[12:13], v[22:23], v[144:145]
	v_fma_f64 v[16:17], v[14:15], v[142:143], -v[12:13]
	s_waitcnt lgkmcnt(1)
	v_mul_f64 v[12:13], v[18:19], v[140:141]
	v_fma_f64 v[40:41], v[8:9], v[138:139], -v[12:13]
	v_mul_f64 v[46:47], v[8:9], v[140:141]
	s_waitcnt vmcnt(4)
	v_mul_f64 v[8:9], v[20:21], v[148:149]
	v_fma_f64 v[32:33], v[10:11], v[146:147], -v[8:9]
	s_waitcnt vmcnt(3) lgkmcnt(0)
	v_mul_f64 v[8:9], v[26:27], v[152:153]
	v_mul_f64 v[24:25], v[14:15], v[144:145]
	;; [unrolled: 1-line block ×3, first 2 shown]
	v_fma_f64 v[14:15], v[4:5], v[150:151], -v[8:9]
	ds_read2_b64 v[8:11], v197 offset0:88 offset1:178
	v_fmac_f64_e32 v[24:25], v[22:23], v[142:143]
	v_mul_f64 v[22:23], v[4:5], v[152:153]
	s_waitcnt vmcnt(2)
	v_mul_f64 v[4:5], v[28:29], v[162:163]
	v_fma_f64 v[4:5], v[6:7], v[160:161], -v[4:5]
	v_mul_f64 v[6:7], v[6:7], v[162:163]
	s_waitcnt vmcnt(1) lgkmcnt(0)
	v_mul_f64 v[12:13], v[8:9], v[166:167]
	v_mul_f64 v[34:35], v[0:1], v[166:167]
	v_fmac_f64_e32 v[6:7], v[28:29], v[160:161]
	v_fma_f64 v[28:29], v[0:1], v[164:165], -v[12:13]
	v_fmac_f64_e32 v[34:35], v[8:9], v[164:165]
	s_waitcnt vmcnt(0)
	v_mul_f64 v[0:1], v[10:11], v[204:205]
	v_add_f64 v[8:9], v[120:121], v[206:207]
	v_fmac_f64_e32 v[38:39], v[20:21], v[146:147]
	v_fma_f64 v[0:1], v[2:3], v[202:203], -v[0:1]
	v_mul_f64 v[20:21], v[2:3], v[204:205]
	v_add_f64 v[2:3], v[118:119], v[120:121]
	v_fmac_f64_e32 v[118:119], -0.5, v[8:9]
	ds_read_b64 v[8:9], v177
	v_fmac_f64_e32 v[20:21], v[10:11], v[202:203]
	v_add_f64 v[10:11], v[168:169], -v[208:209]
	v_fmac_f64_e32 v[52:53], v[42:43], v[84:85]
	v_fmac_f64_e32 v[46:47], v[18:19], v[138:139]
	;; [unrolled: 1-line block ×3, first 2 shown]
	v_fma_f64 v[26:27], s[2:3], v[10:11], v[118:119]
	v_fmac_f64_e32 v[118:119], s[4:5], v[10:11]
	ds_read_b64 v[10:11], v182
	ds_read_b64 v[12:13], v185
	;; [unrolled: 1-line block ×3, first 2 shown]
	s_waitcnt lgkmcnt(3)
	v_add_f64 v[42:43], v[8:9], v[168:169]
	v_fmac_f64_e32 v[8:9], -0.5, v[44:45]
	v_fma_f64 v[44:45], s[4:5], v[50:51], v[8:9]
	v_fmac_f64_e32 v[8:9], s[2:3], v[50:51]
	v_add_f64 v[50:51], v[132:133], v[210:211]
	v_fmac_f64_e32 v[116:117], -0.5, v[50:51]
	v_add_f64 v[50:51], v[154:155], -v[212:213]
	v_add_f64 v[72:73], v[154:155], v[212:213]
	v_fma_f64 v[80:81], s[2:3], v[50:51], v[116:117]
	v_fmac_f64_e32 v[116:117], s[4:5], v[50:51]
	s_waitcnt lgkmcnt(2)
	v_add_f64 v[50:51], v[10:11], v[154:155]
	v_fmac_f64_e32 v[10:11], -0.5, v[72:73]
	v_add_f64 v[72:73], v[132:133], -v[210:211]
	v_add_f64 v[82:83], v[70:71], v[210:211]
	v_fma_f64 v[70:71], s[4:5], v[72:73], v[10:11]
	v_fmac_f64_e32 v[10:11], s[2:3], v[72:73]
	v_add_f64 v[72:73], v[214:215], v[218:219]
	v_add_f64 v[74:75], v[114:115], v[214:215]
	v_fmac_f64_e32 v[114:115], -0.5, v[72:73]
	v_add_f64 v[72:73], v[216:217], -v[220:221]
	v_fma_f64 v[84:85], s[2:3], v[72:73], v[114:115]
	v_fmac_f64_e32 v[114:115], s[4:5], v[72:73]
	s_waitcnt lgkmcnt(1)
	v_add_f64 v[72:73], v[12:13], v[216:217]
	v_fmac_f64_e32 v[12:13], -0.5, v[76:77]
	v_add_f64 v[76:77], v[214:215], -v[218:219]
	v_add_f64 v[86:87], v[74:75], v[218:219]
	v_fma_f64 v[74:75], s[4:5], v[76:77], v[12:13]
	v_fmac_f64_e32 v[12:13], s[2:3], v[76:77]
	v_add_f64 v[76:77], v[62:63], v[88:89]
	v_add_f64 v[120:121], v[112:113], v[62:63]
	v_fmac_f64_e32 v[112:113], -0.5, v[76:77]
	ds_read_b64 v[76:77], v200
	v_add_f64 v[62:63], v[62:63], -v[88:89]
	v_fma_f64 v[128:129], s[2:3], v[78:79], v[112:113]
	v_fmac_f64_e32 v[112:113], s[4:5], v[78:79]
	ds_read_b64 v[78:79], v135
	ds_read_b64 v[130:131], v136
	;; [unrolled: 1-line block ×3, first 2 shown]
	s_waitcnt lgkmcnt(3)
	v_add_f64 v[138:139], v[76:77], v[66:67]
	v_add_f64 v[66:67], v[66:67], v[90:91]
	;; [unrolled: 1-line block ×3, first 2 shown]
	v_fmac_f64_e32 v[76:77], -0.5, v[66:67]
	v_add_f64 v[90:91], v[54:55], v[64:65]
	v_add_f64 v[66:67], v[120:121], v[88:89]
	v_fma_f64 v[88:89], s[4:5], v[62:63], v[76:77]
	v_fmac_f64_e32 v[76:77], s[2:3], v[62:63]
	v_add_f64 v[62:63], v[106:107], v[54:55]
	v_fmac_f64_e32 v[106:107], -0.5, v[90:91]
	v_add_f64 v[90:91], v[58:59], -v[68:69]
	v_fma_f64 v[120:121], s[2:3], v[90:91], v[106:107]
	v_fmac_f64_e32 v[106:107], s[4:5], v[90:91]
	v_add_f64 v[90:91], v[18:19], v[58:59]
	v_add_f64 v[58:59], v[58:59], v[68:69]
	v_fmac_f64_e32 v[18:19], -0.5, v[58:59]
	v_add_f64 v[58:59], v[62:63], v[64:65]
	v_add_f64 v[54:55], v[54:55], -v[64:65]
	v_add_f64 v[62:63], v[48:49], v[56:57]
	ds_read_b64 v[146:147], v199
	ds_read_b64 v[148:149], v201
	v_fma_f64 v[140:141], s[4:5], v[54:55], v[18:19]
	v_fmac_f64_e32 v[18:19], s[2:3], v[54:55]
	v_add_f64 v[54:55], v[108:109], v[48:49]
	v_fmac_f64_e32 v[108:109], -0.5, v[62:63]
	v_add_f64 v[62:63], v[52:53], -v[60:61]
	v_fma_f64 v[64:65], s[2:3], v[62:63], v[108:109]
	v_fmac_f64_e32 v[108:109], s[4:5], v[62:63]
	s_waitcnt lgkmcnt(4)
	v_add_f64 v[62:63], v[78:79], v[52:53]
	v_add_f64 v[52:53], v[52:53], v[60:61]
	v_fmac_f64_e32 v[78:79], -0.5, v[52:53]
	v_add_f64 v[52:53], v[54:55], v[56:57]
	v_add_f64 v[48:49], v[48:49], -v[56:57]
	v_add_f64 v[54:55], v[30:31], v[40:41]
	v_fma_f64 v[144:145], s[4:5], v[48:49], v[78:79]
	v_fmac_f64_e32 v[78:79], s[2:3], v[48:49]
	v_add_f64 v[48:49], v[110:111], v[30:31]
	v_fmac_f64_e32 v[110:111], -0.5, v[54:55]
	v_add_f64 v[54:55], v[36:37], -v[46:47]
	v_fma_f64 v[56:57], s[2:3], v[54:55], v[110:111]
	v_fmac_f64_e32 v[110:111], s[4:5], v[54:55]
	s_waitcnt lgkmcnt(1)
	v_add_f64 v[54:55], v[146:147], v[36:37]
	v_add_f64 v[36:37], v[36:37], v[46:47]
	;; [unrolled: 1-line block ×3, first 2 shown]
	v_fmac_f64_e32 v[146:147], -0.5, v[36:37]
	v_add_f64 v[30:31], v[30:31], -v[40:41]
	v_add_f64 v[46:47], v[16:17], v[32:33]
	v_add_f64 v[36:37], v[48:49], v[40:41]
	v_fma_f64 v[40:41], s[4:5], v[30:31], v[146:147]
	v_fmac_f64_e32 v[146:147], s[2:3], v[30:31]
	v_add_f64 v[30:31], v[98:99], v[16:17]
	v_fmac_f64_e32 v[98:99], -0.5, v[46:47]
	v_add_f64 v[46:47], v[24:25], -v[38:39]
	v_fma_f64 v[48:49], s[2:3], v[46:47], v[98:99]
	v_fmac_f64_e32 v[98:99], s[4:5], v[46:47]
	v_add_f64 v[46:47], v[130:131], v[24:25]
	v_add_f64 v[24:25], v[24:25], v[38:39]
	v_fmac_f64_e32 v[130:131], -0.5, v[24:25]
	v_add_f64 v[24:25], v[30:31], v[32:33]
	v_add_f64 v[16:17], v[16:17], -v[32:33]
	v_add_f64 v[32:33], v[14:15], v[28:29]
	v_fma_f64 v[30:31], s[4:5], v[16:17], v[130:131]
	v_fmac_f64_e32 v[130:131], s[2:3], v[16:17]
	v_add_f64 v[16:17], v[94:95], v[14:15]
	v_fmac_f64_e32 v[94:95], -0.5, v[32:33]
	v_add_f64 v[32:33], v[22:23], -v[34:35]
	v_add_f64 v[46:47], v[46:47], v[38:39]
	v_fma_f64 v[38:39], s[2:3], v[32:33], v[94:95]
	v_fmac_f64_e32 v[94:95], s[4:5], v[32:33]
	v_add_f64 v[32:33], v[132:133], v[22:23]
	v_add_f64 v[22:23], v[22:23], v[34:35]
	v_fmac_f64_e32 v[132:133], -0.5, v[22:23]
	v_add_f64 v[14:15], v[14:15], -v[28:29]
	v_add_f64 v[22:23], v[4:5], v[0:1]
	v_fma_f64 v[154:155], s[4:5], v[14:15], v[132:133]
	v_fmac_f64_e32 v[132:133], s[2:3], v[14:15]
	v_add_f64 v[14:15], v[96:97], v[4:5]
	v_fmac_f64_e32 v[96:97], -0.5, v[22:23]
	v_add_f64 v[22:23], v[6:7], -v[20:21]
	v_add_f64 v[16:17], v[16:17], v[28:29]
	v_fma_f64 v[28:29], s[2:3], v[22:23], v[96:97]
	v_fmac_f64_e32 v[96:97], s[4:5], v[22:23]
	s_waitcnt lgkmcnt(0)
	v_add_f64 v[22:23], v[148:149], v[6:7]
	v_add_f64 v[6:7], v[6:7], v[20:21]
	v_fmac_f64_e32 v[148:149], -0.5, v[6:7]
	v_add_f64 v[6:7], v[14:15], v[0:1]
	v_add_f64 v[0:1], v[4:5], -v[0:1]
	v_fma_f64 v[162:163], s[4:5], v[0:1], v[148:149]
	v_fmac_f64_e32 v[148:149], s[2:3], v[0:1]
	v_mov_b32_e32 v0, 0x1c20
	v_add_f64 v[2:3], v[2:3], v[206:207]
	v_cndmask_b32_e64 v0, 0, v0, s[0:1]
	v_lshlrev_b32_e32 v1, 3, v122
	s_barrier
	ds_write_b64 v177, v[2:3]
	ds_write_b64 v177, v[26:27] offset:2400
	ds_write_b64 v177, v[118:119] offset:4800
	ds_write_b64 v182, v[82:83]
	ds_write_b64 v182, v[80:81] offset:2400
	ds_write_b64 v182, v[116:117] offset:4800
	;; [unrolled: 3-line block ×3, first 2 shown]
	v_add3_u32 v82, 0, v0, v1
	v_mul_u32_u24_e32 v0, 0x1c20, v123
	v_lshlrev_b32_e32 v1, 3, v124
	v_add_u32_e32 v83, 0x1c00, v177
	v_add3_u32 v84, 0, v0, v1
	v_lshl_add_u32 v85, v125, 3, 0
	v_lshl_add_u32 v86, v126, 3, 0
	ds_write_b64 v82, v[66:67]
	ds_write_b64 v82, v[128:129] offset:2400
	ds_write_b64 v82, v[112:113] offset:4800
	ds_write2_b64 v83, v[58:59], v[52:53] offset0:64 offset1:154
	ds_write2_b64 v186, v[120:121], v[64:65] offset0:108 offset1:198
	;; [unrolled: 1-line block ×3, first 2 shown]
	ds_write_b64 v84, v[36:37]
	ds_write_b64 v84, v[56:57] offset:2400
	ds_write_b64 v84, v[110:111] offset:4800
	;; [unrolled: 1-line block ×8, first 2 shown]
	v_lshl_add_u32 v16, v127, 3, 0
	v_add_f64 v[90:91], v[90:91], v[68:69]
	v_add_f64 v[142:143], v[62:63], v[60:61]
	;; [unrolled: 1-line block ×4, first 2 shown]
	ds_write_b64 v16, v[6:7] offset:14400
	ds_write_b64 v16, v[28:29] offset:16800
	;; [unrolled: 1-line block ×3, first 2 shown]
	s_waitcnt lgkmcnt(0)
	s_barrier
	ds_read2_b64 v[24:27], v181 offset0:132 offset1:222
	ds_read2_b64 v[20:23], v180 offset0:8 offset1:98
	;; [unrolled: 1-line block ×4, first 2 shown]
	ds_read_b64 v[106:107], v177
	ds_read_b64 v[108:109], v182
	;; [unrolled: 1-line block ×4, first 2 shown]
	ds_read2_b64 v[56:59], v186 offset0:108 offset1:198
	ds_read2_b64 v[52:55], v187 offset0:112 offset1:202
	;; [unrolled: 1-line block ×4, first 2 shown]
	ds_read_b64 v[80:81], v135
	ds_read_b64 v[48:49], v136
	;; [unrolled: 1-line block ×6, first 2 shown]
	ds_read2_b64 v[0:3], v196 offset0:84 offset1:174
	ds_read2_b64 v[4:7], v197 offset0:88 offset1:178
	v_add_f64 v[42:43], v[42:43], v[208:209]
	v_add_f64 v[50:51], v[50:51], v[212:213]
	;; [unrolled: 1-line block ×3, first 2 shown]
	s_waitcnt lgkmcnt(0)
	s_barrier
	ds_write_b64 v177, v[42:43]
	ds_write_b64 v177, v[44:45] offset:2400
	ds_write_b64 v177, v[8:9] offset:4800
	ds_write_b64 v182, v[50:51]
	ds_write_b64 v182, v[70:71] offset:2400
	ds_write_b64 v182, v[10:11] offset:4800
	;; [unrolled: 3-line block ×4, first 2 shown]
	ds_write2_b64 v83, v[90:91], v[142:143] offset0:64 offset1:154
	ds_write2_b64 v186, v[140:141], v[144:145] offset0:108 offset1:198
	;; [unrolled: 1-line block ×3, first 2 shown]
	ds_write_b64 v84, v[150:151]
	ds_write_b64 v84, v[40:41] offset:2400
	ds_write_b64 v84, v[146:147] offset:4800
	;; [unrolled: 1-line block ×11, first 2 shown]
	s_waitcnt lgkmcnt(0)
	s_barrier
	s_and_saveexec_b64 s[0:1], vcc
	s_cbranch_execz .LBB0_15
; %bb.14:
	v_lshlrev_b32_e32 v92, 1, v179
	v_lshl_add_u64 v[8:9], v[92:93], 4, s[8:9]
	s_mov_b64 s[0:1], 0x3810
	v_add_co_u32_e32 v30, vcc, 0x3000, v8
	v_lshl_add_u64 v[12:13], v[8:9], 0, s[0:1]
	s_nop 0
	v_addc_co_u32_e32 v31, vcc, 0, v9, vcc
	v_lshlrev_b32_e32 v92, 1, v176
	global_load_dwordx4 v[8:11], v[30:31], off offset:2064
	global_load_dwordx4 v[16:19], v[12:13], off offset:16
	v_lshl_add_u64 v[12:13], v[92:93], 4, s[8:9]
	v_lshl_add_u64 v[30:31], v[12:13], 0, s[0:1]
	v_add_co_u32_e32 v12, vcc, s12, v12
	v_lshlrev_b32_e32 v92, 1, v175
	s_nop 0
	v_addc_co_u32_e32 v13, vcc, 0, v13, vcc
	global_load_dwordx4 v[40:43], v[12:13], off offset:2064
	global_load_dwordx4 v[44:47], v[30:31], off offset:16
	v_lshl_add_u64 v[12:13], v[92:93], 4, s[8:9]
	v_add_co_u32_e32 v30, vcc, s12, v12
	v_mul_lo_u32 v78, s10, v159
	s_nop 0
	v_addc_co_u32_e32 v31, vcc, 0, v13, vcc
	global_load_dwordx4 v[70:73], v[30:31], off offset:2064
	v_lshl_add_u64 v[12:13], v[12:13], 0, s[0:1]
	global_load_dwordx4 v[74:77], v[12:13], off offset:16
	v_mul_lo_u32 v31, s11, v158
	v_mad_u64_u32 v[116:117], s[10:11], s10, v158, 0
	v_lshlrev_b32_e32 v92, 1, v174
	v_add3_u32 v117, v117, v78, v31
	v_lshl_add_u64 v[78:79], v[92:93], 4, s[8:9]
	v_sub_u32_e32 v30, 0, v195
	v_lshl_add_u64 v[90:91], v[78:79], 0, s[0:1]
	v_add_co_u32_e32 v78, vcc, s12, v78
	v_add_u32_e32 v30, v193, v30
	s_nop 0
	v_addc_co_u32_e32 v79, vcc, 0, v79, vcc
	ds_read2_b64 v[82:85], v196 offset0:84 offset1:174
	ds_read2_b64 v[86:89], v197 offset0:88 offset1:178
	ds_read_b64 v[12:13], v137
	ds_read_b64 v[50:51], v136
	;; [unrolled: 1-line block ×3, first 2 shown]
	global_load_dwordx4 v[94:97], v[78:79], off offset:2064
	global_load_dwordx4 v[120:123], v[90:91], off offset:16
	v_lshlrev_b32_e32 v92, 1, v173
	ds_read2_b64 v[136:139], v189 offset0:36 offset1:126
	v_sub_u32_e32 v119, 0, v194
	v_sub_u32_e32 v118, 0, v198
	ds_read2_b64 v[146:149], v184 offset0:60 offset1:150
	s_waitcnt vmcnt(7) lgkmcnt(6)
	v_mul_f64 v[78:79], v[10:11], v[84:85]
	s_waitcnt vmcnt(6) lgkmcnt(5)
	v_mul_f64 v[90:91], v[18:19], v[88:89]
	v_mul_f64 v[84:85], v[8:9], v[84:85]
	v_mul_f64 v[88:89], v[16:17], v[88:89]
	v_fma_f64 v[8:9], v[2:3], v[8:9], -v[78:79]
	v_fma_f64 v[16:17], v[6:7], v[16:17], -v[90:91]
	v_fmac_f64_e32 v[84:85], v[2:3], v[10:11]
	v_fmac_f64_e32 v[88:89], v[6:7], v[18:19]
	s_waitcnt vmcnt(5)
	v_mul_f64 v[98:99], v[42:43], v[82:83]
	s_waitcnt vmcnt(4)
	v_mul_f64 v[124:125], v[46:47], v[86:87]
	v_mul_f64 v[82:83], v[40:41], v[82:83]
	;; [unrolled: 1-line block ×3, first 2 shown]
	v_fmac_f64_e32 v[82:83], v[0:1], v[42:43]
	v_fmac_f64_e32 v[86:87], v[4:5], v[46:47]
	v_fma_f64 v[44:45], v[4:5], v[44:45], -v[124:125]
	s_waitcnt lgkmcnt(2)
	v_add_f64 v[4:5], v[84:85], v[30:31]
	v_add_f64 v[18:19], v[8:9], v[16:17]
	v_add_f64 v[78:79], v[82:83], v[86:87]
	v_fma_f64 v[40:41], v[0:1], v[40:41], -v[98:99]
	v_add_f64 v[0:1], v[8:9], -v[16:17]
	v_add_f64 v[2:3], v[84:85], v[88:89]
	v_add_f64 v[42:43], v[84:85], -v[88:89]
	v_add_f64 v[8:9], v[14:15], v[8:9]
	v_add_f64 v[84:85], v[82:83], v[12:13]
	;; [unrolled: 1-line block ×3, first 2 shown]
	v_fma_f64 v[4:5], -0.5, v[18:19], v[14:15]
	v_fma_f64 v[18:19], -0.5, v[78:79], v[12:13]
	v_lshl_add_u64 v[12:13], v[92:93], 4, s[8:9]
	v_add_f64 v[8:9], v[8:9], v[16:17]
	v_add_co_u32_e32 v16, vcc, s12, v12
	v_fma_f64 v[6:7], -0.5, v[2:3], v[30:31]
	s_nop 0
	v_addc_co_u32_e32 v17, vcc, 0, v13, vcc
	global_load_dwordx4 v[124:127], v[16:17], off offset:2064
	v_lshl_add_u64 v[12:13], v[12:13], 0, s[0:1]
	global_load_dwordx4 v[128:131], v[12:13], off offset:16
	v_fma_f64 v[2:3], s[2:3], v[0:1], v[6:7]
	v_fmac_f64_e32 v[6:7], s[4:5], v[0:1]
	v_fma_f64 v[0:1], s[4:5], v[42:43], v[4:5]
	v_fmac_f64_e32 v[4:5], s[2:3], v[42:43]
	v_add_f64 v[30:31], v[86:87], v[84:85]
	v_add_f64 v[42:43], v[82:83], -v[86:87]
	ds_read2_b64 v[82:85], v190 offset0:160 offset1:250
	v_add_f64 v[12:13], v[40:41], v[44:45]
	v_fma_f64 v[16:17], -0.5, v[12:13], v[28:29]
	v_add_f64 v[28:29], v[28:29], v[40:41]
	v_lshlrev_b32_e32 v92, 1, v172
	v_add_f64 v[46:47], v[40:41], -v[44:45]
	v_add_f64 v[28:29], v[28:29], v[44:45]
	v_lshl_add_u64 v[44:45], v[92:93], 4, s[8:9]
	v_fma_f64 v[14:15], s[2:3], v[46:47], v[18:19]
	v_fmac_f64_e32 v[18:19], s[4:5], v[46:47]
	v_add_co_u32_e32 v46, vcc, s12, v44
	s_waitcnt vmcnt(5) lgkmcnt(0)
	v_mul_f64 v[40:41], v[72:73], v[84:85]
	v_addc_co_u32_e32 v47, vcc, 0, v45, vcc
	v_fma_f64 v[78:79], v[66:67], v[70:71], -v[40:41]
	v_mul_f64 v[70:71], v[70:71], v[84:85]
	global_load_dwordx4 v[84:87], v[46:47], off offset:2064
	v_lshl_add_u64 v[44:45], v[44:45], 0, s[0:1]
	global_load_dwordx4 v[88:91], v[44:45], off offset:16
	v_fmac_f64_e32 v[70:71], v[66:67], v[72:73]
	s_waitcnt vmcnt(6)
	v_mul_f64 v[66:67], v[74:75], v[138:139]
	v_mul_f64 v[40:41], v[76:77], v[138:139]
	v_fmac_f64_e32 v[66:67], v[62:63], v[76:77]
	v_fma_f64 v[12:13], s[4:5], v[42:43], v[16:17]
	v_fmac_f64_e32 v[16:17], s[2:3], v[42:43]
	v_fma_f64 v[98:99], v[62:63], v[74:75], -v[40:41]
	v_add_f64 v[42:43], v[70:71], v[66:67]
	v_add_f64 v[40:41], v[78:79], -v[98:99]
	v_fma_f64 v[46:47], -0.5, v[42:43], v[50:51]
	v_fma_f64 v[42:43], s[2:3], v[40:41], v[46:47]
	v_fmac_f64_e32 v[46:47], s[4:5], v[40:41]
	v_add_f64 v[40:41], v[70:71], v[50:51]
	v_add_f64 v[50:51], v[66:67], v[40:41]
	;; [unrolled: 1-line block ×3, first 2 shown]
	v_fma_f64 v[44:45], -0.5, v[40:41], v[48:49]
	v_add_f64 v[62:63], v[70:71], -v[66:67]
	v_fma_f64 v[40:41], s[4:5], v[62:63], v[44:45]
	v_fmac_f64_e32 v[44:45], s[2:3], v[62:63]
	s_waitcnt vmcnt(5)
	v_mul_f64 v[62:63], v[96:97], v[82:83]
	v_fma_f64 v[74:75], v[64:65], v[94:95], -v[62:63]
	s_waitcnt vmcnt(4)
	v_mul_f64 v[62:63], v[122:123], v[136:137]
	v_fma_f64 v[76:77], v[60:61], v[120:121], -v[62:63]
	v_add_u32_e32 v62, v188, v119
	ds_read_b64 v[72:73], v135
	v_add_f64 v[48:49], v[48:49], v[78:79]
	ds_read_b64 v[78:79], v62
	v_mul_f64 v[82:83], v[94:95], v[82:83]
	v_mul_f64 v[120:121], v[120:121], v[136:137]
	v_fmac_f64_e32 v[82:83], v[64:65], v[96:97]
	v_fmac_f64_e32 v[120:121], v[60:61], v[122:123]
	v_lshlrev_b32_e32 v92, 1, v171
	v_add_f64 v[60:61], v[82:83], v[120:121]
	v_lshl_add_u64 v[64:65], v[92:93], 4, s[8:9]
	s_waitcnt lgkmcnt(0)
	v_fma_f64 v[66:67], -0.5, v[60:61], v[78:79]
	v_add_f64 v[60:61], v[82:83], v[78:79]
	v_add_co_u32_e32 v78, vcc, s12, v64
	v_add_f64 v[70:71], v[74:75], -v[76:77]
	s_nop 0
	v_addc_co_u32_e32 v79, vcc, 0, v65, vcc
	v_lshl_add_u64 v[64:65], v[64:65], 0, s[0:1]
	v_add_f64 v[48:49], v[48:49], v[98:99]
	v_fma_f64 v[62:63], s[2:3], v[70:71], v[66:67]
	v_fmac_f64_e32 v[66:67], s[4:5], v[70:71]
	v_add_f64 v[70:71], v[120:121], v[60:61]
	global_load_dwordx4 v[92:95], v[78:79], off offset:2064
	global_load_dwordx4 v[96:99], v[64:65], off offset:16
	v_add_f64 v[78:79], v[82:83], -v[120:121]
	ds_read2_b64 v[120:123], v186 offset0:108 offset1:198
	ds_read2_b64 v[136:139], v187 offset0:112 offset1:202
	v_add_f64 v[60:61], v[74:75], v[76:77]
	v_fma_f64 v[64:65], -0.5, v[60:61], v[68:69]
	v_add_f64 v[68:69], v[68:69], v[74:75]
	s_waitcnt vmcnt(5) lgkmcnt(1)
	v_mul_f64 v[74:75], v[126:127], v[122:123]
	v_mul_f64 v[142:143], v[124:125], v[122:123]
	v_fma_f64 v[132:133], v[58:59], v[124:125], -v[74:75]
	s_waitcnt vmcnt(4) lgkmcnt(0)
	v_mul_f64 v[74:75], v[130:131], v[138:139]
	v_fmac_f64_e32 v[142:143], v[58:59], v[126:127]
	v_mul_f64 v[58:59], v[128:129], v[138:139]
	v_fma_f64 v[140:141], v[54:55], v[128:129], -v[74:75]
	v_fmac_f64_e32 v[58:59], v[54:55], v[130:131]
	v_add_co_u32_e32 v54, vcc, s12, v104
	v_fma_f64 v[60:61], s[4:5], v[78:79], v[64:65]
	s_nop 0
	v_addc_co_u32_e32 v55, vcc, 0, v105, vcc
	global_load_dwordx4 v[122:125], v[54:55], off offset:2064
	v_lshl_add_u64 v[54:55], v[104:105], 0, s[0:1]
	global_load_dwordx4 v[126:129], v[54:55], off offset:16
	v_add_f64 v[54:55], v[142:143], v[58:59]
	v_fmac_f64_e32 v[64:65], s[2:3], v[78:79]
	v_fma_f64 v[78:79], -0.5, v[54:55], v[72:73]
	v_add_f64 v[54:55], v[142:143], v[72:73]
	v_add_f64 v[68:69], v[68:69], v[76:77]
	v_add_f64 v[76:77], v[132:133], -v[140:141]
	v_add_f64 v[82:83], v[58:59], v[54:55]
	v_add_f64 v[54:55], v[132:133], v[140:141]
	v_fma_f64 v[74:75], s[2:3], v[76:77], v[78:79]
	v_fmac_f64_e32 v[78:79], s[4:5], v[76:77]
	v_fma_f64 v[76:77], -0.5, v[54:55], v[80:81]
	v_add_f64 v[54:55], v[142:143], -v[58:59]
	v_fma_f64 v[72:73], s[4:5], v[54:55], v[76:77]
	v_fmac_f64_e32 v[76:77], s[2:3], v[54:55]
	v_add_f64 v[54:55], v[80:81], v[132:133]
	v_add_f64 v[80:81], v[54:55], v[140:141]
	s_waitcnt vmcnt(5)
	v_mul_f64 v[54:55], v[86:87], v[120:121]
	v_fma_f64 v[150:151], v[56:57], v[84:85], -v[54:55]
	s_waitcnt vmcnt(4)
	v_mul_f64 v[54:55], v[90:91], v[136:137]
	v_fma_f64 v[152:153], v[52:53], v[88:89], -v[54:55]
	v_add_co_u32_e32 v54, vcc, s12, v102
	v_mul_f64 v[84:85], v[84:85], v[120:121]
	s_nop 0
	v_addc_co_u32_e32 v55, vcc, 0, v103, vcc
	global_load_dwordx4 v[130:133], v[54:55], off offset:2064
	v_lshl_add_u64 v[54:55], v[102:103], 0, s[0:1]
	v_fmac_f64_e32 v[84:85], v[56:57], v[86:87]
	ds_read_b64 v[56:57], v134
	ds_read_b64 v[120:121], v185
	global_load_dwordx4 v[102:105], v[54:55], off offset:16
	v_mul_f64 v[88:89], v[88:89], v[136:137]
	v_fmac_f64_e32 v[88:89], v[52:53], v[90:91]
	v_add_f64 v[52:53], v[84:85], v[88:89]
	v_add_u32_e32 v90, v178, v118
	ds_read_b64 v[118:119], v90
	s_waitcnt lgkmcnt(2)
	v_fma_f64 v[58:59], -0.5, v[52:53], v[56:57]
	v_add_f64 v[52:53], v[84:85], v[56:57]
	v_add_f64 v[86:87], v[88:89], v[52:53]
	v_add_f64 v[84:85], v[84:85], -v[88:89]
	v_add_co_u32_e32 v88, vcc, s12, v100
	v_add_f64 v[138:139], v[150:151], -v[152:153]
	s_nop 0
	v_addc_co_u32_e32 v89, vcc, 0, v101, vcc
	global_load_dwordx4 v[134:137], v[88:89], off offset:2064
	v_lshl_add_u64 v[88:89], v[100:101], 0, s[0:1]
	v_fma_f64 v[54:55], s[2:3], v[138:139], v[58:59]
	v_fmac_f64_e32 v[58:59], s[4:5], v[138:139]
	global_load_dwordx4 v[138:141], v[88:89], off offset:16
	ds_read2_b64 v[142:145], v183 offset0:56 offset1:146
	v_add_f64 v[52:53], v[150:151], v[152:153]
	v_fma_f64 v[56:57], -0.5, v[52:53], v[114:115]
	v_fma_f64 v[52:53], s[4:5], v[84:85], v[56:57]
	v_fmac_f64_e32 v[56:57], s[2:3], v[84:85]
	v_add_f64 v[84:85], v[114:115], v[150:151]
	s_waitcnt vmcnt(7) lgkmcnt(0)
	v_mul_f64 v[88:89], v[94:95], v[144:145]
	v_mul_f64 v[144:145], v[92:93], v[144:145]
	v_fma_f64 v[100:101], v[38:39], v[92:93], -v[88:89]
	v_fmac_f64_e32 v[144:145], v[38:39], v[94:95]
	s_waitcnt vmcnt(6)
	v_mul_f64 v[38:39], v[96:97], v[148:149]
	v_mul_f64 v[88:89], v[98:99], v[148:149]
	v_fmac_f64_e32 v[38:39], v[34:35], v[98:99]
	v_fma_f64 v[114:115], v[34:35], v[96:97], -v[88:89]
	v_add_f64 v[34:35], v[144:145], v[38:39]
	v_fma_f64 v[94:95], -0.5, v[34:35], v[118:119]
	v_add_f64 v[34:35], v[144:145], v[118:119]
	v_add_f64 v[98:99], v[38:39], v[34:35]
	;; [unrolled: 1-line block ×3, first 2 shown]
	v_add_f64 v[88:89], v[100:101], -v[114:115]
	v_fma_f64 v[92:93], -0.5, v[34:35], v[112:113]
	v_add_f64 v[34:35], v[144:145], -v[38:39]
	v_fma_f64 v[90:91], s[2:3], v[88:89], v[94:95]
	v_fmac_f64_e32 v[94:95], s[4:5], v[88:89]
	v_fma_f64 v[88:89], s[4:5], v[34:35], v[92:93]
	v_fmac_f64_e32 v[92:93], s[2:3], v[34:35]
	v_add_f64 v[34:35], v[112:113], v[100:101]
	v_add_f64 v[96:97], v[34:35], v[114:115]
	s_waitcnt vmcnt(5)
	v_mul_f64 v[34:35], v[124:125], v[142:143]
	v_mul_f64 v[118:119], v[122:123], v[142:143]
	v_fma_f64 v[100:101], v[36:37], v[122:123], -v[34:35]
	v_fmac_f64_e32 v[118:119], v[36:37], v[124:125]
	s_waitcnt vmcnt(4)
	v_mul_f64 v[36:37], v[126:127], v[146:147]
	v_mul_f64 v[34:35], v[128:129], v[146:147]
	v_fmac_f64_e32 v[36:37], v[32:33], v[128:129]
	v_fma_f64 v[114:115], v[32:33], v[126:127], -v[34:35]
	v_add_f64 v[32:33], v[118:119], v[36:37]
	v_add_f64 v[112:113], v[100:101], -v[114:115]
	v_fma_f64 v[34:35], -0.5, v[32:33], v[120:121]
	v_add_f64 v[32:33], v[118:119], v[120:121]
	v_fma_f64 v[38:39], s[2:3], v[112:113], v[34:35]
	v_fmac_f64_e32 v[34:35], s[4:5], v[112:113]
	v_add_f64 v[112:113], v[36:37], v[32:33]
	v_add_f64 v[32:33], v[100:101], v[114:115]
	v_fma_f64 v[32:33], -0.5, v[32:33], v[110:111]
	v_add_f64 v[122:123], v[118:119], -v[36:37]
	ds_read2_b64 v[118:121], v181 offset0:132 offset1:222
	v_fma_f64 v[36:37], s[4:5], v[122:123], v[32:33]
	v_fmac_f64_e32 v[32:33], s[2:3], v[122:123]
	ds_read2_b64 v[122:125], v180 offset0:8 offset1:98
	ds_read_b64 v[128:129], v182
	v_add_f64 v[100:101], v[110:111], v[100:101]
	v_add_f64 v[110:111], v[100:101], v[114:115]
	s_mov_b32 s0, 0x91a2b3c5
	s_movk_i32 s1, 0xa8c
	s_waitcnt vmcnt(3) lgkmcnt(2)
	v_mul_f64 v[100:101], v[132:133], v[120:121]
	v_mul_f64 v[120:121], v[130:131], v[120:121]
	v_fma_f64 v[114:115], v[26:27], v[130:131], -v[100:101]
	v_fmac_f64_e32 v[120:121], v[26:27], v[132:133]
	v_add_f64 v[84:85], v[84:85], v[152:153]
	s_waitcnt vmcnt(2) lgkmcnt(1)
	v_mul_f64 v[26:27], v[102:103], v[124:125]
	v_mul_f64 v[100:101], v[104:105], v[124:125]
	v_fmac_f64_e32 v[26:27], v[22:23], v[104:105]
	ds_read_b64 v[104:105], v177
	v_fma_f64 v[142:143], v[22:23], v[102:103], -v[100:101]
	v_add_f64 v[22:23], v[120:121], v[26:27]
	s_waitcnt lgkmcnt(1)
	v_fma_f64 v[102:103], -0.5, v[22:23], v[128:129]
	v_add_f64 v[22:23], v[120:121], v[128:129]
	v_add_f64 v[100:101], v[114:115], -v[142:143]
	v_add_f64 v[130:131], v[26:27], v[22:23]
	v_add_f64 v[22:23], v[114:115], v[142:143]
	v_fma_f64 v[126:127], s[2:3], v[100:101], v[102:103]
	v_fmac_f64_e32 v[102:103], s[4:5], v[100:101]
	v_fma_f64 v[100:101], -0.5, v[22:23], v[108:109]
	v_add_f64 v[22:23], v[120:121], -v[26:27]
	v_fma_f64 v[124:125], s[4:5], v[22:23], v[100:101]
	v_fmac_f64_e32 v[100:101], s[2:3], v[22:23]
	v_add_f64 v[22:23], v[108:109], v[114:115]
	v_add_f64 v[128:129], v[22:23], v[142:143]
	s_waitcnt vmcnt(1)
	v_mul_f64 v[22:23], v[136:137], v[118:119]
	v_fma_f64 v[26:27], v[24:25], v[134:135], -v[22:23]
	s_waitcnt vmcnt(0)
	v_mul_f64 v[22:23], v[140:141], v[122:123]
	v_mul_f64 v[118:119], v[134:135], v[118:119]
	;; [unrolled: 1-line block ×3, first 2 shown]
	v_fmac_f64_e32 v[118:119], v[24:25], v[136:137]
	v_fmac_f64_e32 v[122:123], v[20:21], v[140:141]
	v_fma_f64 v[114:115], v[20:21], v[138:139], -v[22:23]
	v_add_f64 v[20:21], v[118:119], v[122:123]
	s_waitcnt lgkmcnt(0)
	v_fma_f64 v[24:25], -0.5, v[20:21], v[104:105]
	v_add_f64 v[20:21], v[118:119], v[104:105]
	v_add_f64 v[22:23], v[26:27], -v[114:115]
	v_add_f64 v[108:109], v[122:123], v[20:21]
	v_add_f64 v[20:21], v[26:27], v[114:115]
	v_fma_f64 v[120:121], s[2:3], v[22:23], v[24:25]
	v_fmac_f64_e32 v[24:25], s[4:5], v[22:23]
	v_fma_f64 v[22:23], -0.5, v[20:21], v[106:107]
	v_add_f64 v[20:21], v[118:119], -v[122:123]
	v_fma_f64 v[118:119], s[4:5], v[20:21], v[22:23]
	v_fmac_f64_e32 v[22:23], s[2:3], v[20:21]
	v_add_f64 v[20:21], v[106:107], v[26:27]
	v_add_f64 v[106:107], v[20:21], v[114:115]
	v_mul_hi_u32 v20, v170, s0
	v_lshrrev_b32_e32 v20, 9, v20
	v_mul_u32_u24_e32 v20, 0x384, v20
	v_sub_u32_e32 v114, v170, v20
	v_mad_u64_u32 v[26:27], s[2:3], s16, v114, 0
	v_mov_b32_e32 v20, v27
	v_mad_u64_u32 v[20:21], s[2:3], s17, v114, v[20:21]
	v_mov_b32_e32 v27, v20
	v_lshl_add_u64 v[20:21], v[116:117], 4, s[6:7]
	v_lshl_add_u64 v[20:21], v[156:157], 4, v[20:21]
	;; [unrolled: 1-line block ×3, first 2 shown]
	v_add_u32_e32 v105, 0x384, v114
	global_store_dwordx4 v[26:27], v[106:109], off
	v_mad_u64_u32 v[26:27], s[2:3], s16, v105, 0
	v_mov_b32_e32 v104, v27
	v_mad_u64_u32 v[104:105], s[2:3], s17, v105, v[104:105]
	v_mov_b32_e32 v27, v104
	v_lshl_add_u64 v[26:27], v[26:27], 4, v[20:21]
	global_store_dwordx4 v[26:27], v[22:25], off
	s_nop 1
	v_add_u32_e32 v25, 0x708, v114
	v_mad_u64_u32 v[22:23], s[2:3], s16, v25, 0
	v_mov_b32_e32 v24, v23
	v_mad_u64_u32 v[24:25], s[2:3], s17, v25, v[24:25]
	v_mov_b32_e32 v23, v24
	v_lshl_add_u64 v[22:23], v[22:23], 4, v[20:21]
	global_store_dwordx4 v[22:23], v[118:121], off
	v_add_u32_e32 v22, 0x5a, v170
	v_mul_hi_u32 v23, v22, s0
	v_lshrrev_b32_e32 v23, 9, v23
	v_mul_u32_u24_e32 v24, 0x384, v23
	v_sub_u32_e32 v22, v22, v24
	v_mad_u32_u24 v26, v23, s1, v22
	v_mad_u64_u32 v[22:23], s[2:3], s16, v26, 0
	v_mov_b32_e32 v24, v23
	v_mad_u64_u32 v[24:25], s[2:3], s17, v26, v[24:25]
	v_mov_b32_e32 v23, v24
	v_lshl_add_u64 v[22:23], v[22:23], 4, v[20:21]
	v_add_u32_e32 v25, 0x384, v26
	global_store_dwordx4 v[22:23], v[128:131], off
	v_mad_u64_u32 v[22:23], s[2:3], s16, v25, 0
	v_mov_b32_e32 v24, v23
	v_mad_u64_u32 v[24:25], s[2:3], s17, v25, v[24:25]
	v_mov_b32_e32 v23, v24
	v_lshl_add_u64 v[22:23], v[22:23], 4, v[20:21]
	v_add_u32_e32 v25, 0x708, v26
	global_store_dwordx4 v[22:23], v[100:103], off
	v_mad_u64_u32 v[22:23], s[2:3], s16, v25, 0
	v_mov_b32_e32 v24, v23
	v_mad_u64_u32 v[24:25], s[2:3], s17, v25, v[24:25]
	v_mov_b32_e32 v23, v24
	v_lshl_add_u64 v[22:23], v[22:23], 4, v[20:21]
	global_store_dwordx4 v[22:23], v[124:127], off
	v_add_u32_e32 v22, 0xb4, v170
	v_mul_hi_u32 v23, v22, s0
	v_lshrrev_b32_e32 v23, 9, v23
	v_mul_u32_u24_e32 v24, 0x384, v23
	v_sub_u32_e32 v22, v22, v24
	v_mad_u32_u24 v26, v23, s1, v22
	v_mad_u64_u32 v[22:23], s[2:3], s16, v26, 0
	v_mov_b32_e32 v24, v23
	v_mad_u64_u32 v[24:25], s[2:3], s17, v26, v[24:25]
	v_mov_b32_e32 v23, v24
	v_lshl_add_u64 v[22:23], v[22:23], 4, v[20:21]
	v_add_u32_e32 v25, 0x384, v26
	global_store_dwordx4 v[22:23], v[110:113], off
	v_mad_u64_u32 v[22:23], s[2:3], s16, v25, 0
	v_mov_b32_e32 v24, v23
	v_mad_u64_u32 v[24:25], s[2:3], s17, v25, v[24:25]
	v_mov_b32_e32 v23, v24
	v_lshl_add_u64 v[22:23], v[22:23], 4, v[20:21]
	v_add_u32_e32 v25, 0x708, v26
	global_store_dwordx4 v[22:23], v[32:35], off
	;; [unrolled: 26-line block ×7, first 2 shown]
	v_mad_u64_u32 v[22:23], s[2:3], s16, v25, 0
	v_mov_b32_e32 v24, v23
	v_mad_u64_u32 v[24:25], s[2:3], s17, v25, v[24:25]
	v_mov_b32_e32 v23, v24
	v_lshl_add_u64 v[22:23], v[22:23], 4, v[20:21]
	global_store_dwordx4 v[22:23], v[40:43], off
	v_add_u32_e32 v22, 0x2d0, v170
	v_mul_hi_u32 v23, v22, s0
	v_lshrrev_b32_e32 v23, 9, v23
	v_mul_u32_u24_e32 v24, 0x384, v23
	v_sub_u32_e32 v22, v22, v24
	v_mad_u32_u24 v26, v23, s1, v22
	v_mad_u64_u32 v[22:23], s[2:3], s16, v26, 0
	v_mov_b32_e32 v24, v23
	v_mad_u64_u32 v[24:25], s[2:3], s17, v26, v[24:25]
	v_mov_b32_e32 v23, v24
	v_lshl_add_u64 v[22:23], v[22:23], 4, v[20:21]
	v_add_u32_e32 v25, 0x384, v26
	global_store_dwordx4 v[22:23], v[28:31], off
	v_mad_u64_u32 v[22:23], s[2:3], s16, v25, 0
	v_mov_b32_e32 v24, v23
	v_mad_u64_u32 v[24:25], s[2:3], s17, v25, v[24:25]
	v_mov_b32_e32 v23, v24
	v_lshl_add_u64 v[22:23], v[22:23], 4, v[20:21]
	global_store_dwordx4 v[22:23], v[16:19], off
	s_nop 1
	v_add_u32_e32 v19, 0x708, v26
	v_mad_u64_u32 v[16:17], s[2:3], s16, v19, 0
	v_mov_b32_e32 v18, v17
	v_mad_u64_u32 v[18:19], s[2:3], s17, v19, v[18:19]
	v_mov_b32_e32 v17, v18
	v_lshl_add_u64 v[16:17], v[16:17], 4, v[20:21]
	global_store_dwordx4 v[16:17], v[12:15], off
	s_nop 1
	v_add_u32_e32 v12, 0x32a, v170
	v_mul_hi_u32 v13, v12, s0
	v_lshrrev_b32_e32 v13, 9, v13
	v_mul_u32_u24_e32 v14, 0x384, v13
	v_sub_u32_e32 v12, v12, v14
	v_mad_u32_u24 v16, v13, s1, v12
	v_mad_u64_u32 v[12:13], s[0:1], s16, v16, 0
	v_mov_b32_e32 v14, v13
	v_mad_u64_u32 v[14:15], s[0:1], s17, v16, v[14:15]
	v_mov_b32_e32 v13, v14
	v_lshl_add_u64 v[12:13], v[12:13], 4, v[20:21]
	global_store_dwordx4 v[12:13], v[8:11], off
	s_nop 1
	v_add_u32_e32 v11, 0x384, v16
	v_mad_u64_u32 v[8:9], s[0:1], s16, v11, 0
	v_mov_b32_e32 v10, v9
	v_mad_u64_u32 v[10:11], s[0:1], s17, v11, v[10:11]
	v_mov_b32_e32 v9, v10
	v_lshl_add_u64 v[8:9], v[8:9], 4, v[20:21]
	global_store_dwordx4 v[8:9], v[4:7], off
	s_nop 1
	v_add_u32_e32 v7, 0x708, v16
	v_mad_u64_u32 v[4:5], s[0:1], s16, v7, 0
	v_mov_b32_e32 v6, v5
	v_mad_u64_u32 v[6:7], s[0:1], s17, v7, v[6:7]
	v_mov_b32_e32 v5, v6
	v_lshl_add_u64 v[4:5], v[4:5], 4, v[20:21]
	global_store_dwordx4 v[4:5], v[0:3], off
.LBB0_15:
	s_endpgm
	.section	.rodata,"a",@progbits
	.p2align	6, 0x0
	.amdhsa_kernel fft_rtc_fwd_len2700_factors_3_10_10_3_3_wgs_90_tpt_90_halfLds_dp_op_CI_CI_sbrr_dirReg
		.amdhsa_group_segment_fixed_size 0
		.amdhsa_private_segment_fixed_size 0
		.amdhsa_kernarg_size 104
		.amdhsa_user_sgpr_count 2
		.amdhsa_user_sgpr_dispatch_ptr 0
		.amdhsa_user_sgpr_queue_ptr 0
		.amdhsa_user_sgpr_kernarg_segment_ptr 1
		.amdhsa_user_sgpr_dispatch_id 0
		.amdhsa_user_sgpr_kernarg_preload_length 0
		.amdhsa_user_sgpr_kernarg_preload_offset 0
		.amdhsa_user_sgpr_private_segment_size 0
		.amdhsa_uses_dynamic_stack 0
		.amdhsa_enable_private_segment 0
		.amdhsa_system_sgpr_workgroup_id_x 1
		.amdhsa_system_sgpr_workgroup_id_y 0
		.amdhsa_system_sgpr_workgroup_id_z 0
		.amdhsa_system_sgpr_workgroup_info 0
		.amdhsa_system_vgpr_workitem_id 0
		.amdhsa_next_free_vgpr 236
		.amdhsa_next_free_sgpr 32
		.amdhsa_accum_offset 236
		.amdhsa_reserve_vcc 1
		.amdhsa_float_round_mode_32 0
		.amdhsa_float_round_mode_16_64 0
		.amdhsa_float_denorm_mode_32 3
		.amdhsa_float_denorm_mode_16_64 3
		.amdhsa_dx10_clamp 1
		.amdhsa_ieee_mode 1
		.amdhsa_fp16_overflow 0
		.amdhsa_tg_split 0
		.amdhsa_exception_fp_ieee_invalid_op 0
		.amdhsa_exception_fp_denorm_src 0
		.amdhsa_exception_fp_ieee_div_zero 0
		.amdhsa_exception_fp_ieee_overflow 0
		.amdhsa_exception_fp_ieee_underflow 0
		.amdhsa_exception_fp_ieee_inexact 0
		.amdhsa_exception_int_div_zero 0
	.end_amdhsa_kernel
	.text
.Lfunc_end0:
	.size	fft_rtc_fwd_len2700_factors_3_10_10_3_3_wgs_90_tpt_90_halfLds_dp_op_CI_CI_sbrr_dirReg, .Lfunc_end0-fft_rtc_fwd_len2700_factors_3_10_10_3_3_wgs_90_tpt_90_halfLds_dp_op_CI_CI_sbrr_dirReg
                                        ; -- End function
	.section	.AMDGPU.csdata,"",@progbits
; Kernel info:
; codeLenInByte = 21760
; NumSgprs: 38
; NumVgprs: 236
; NumAgprs: 0
; TotalNumVgprs: 236
; ScratchSize: 0
; MemoryBound: 1
; FloatMode: 240
; IeeeMode: 1
; LDSByteSize: 0 bytes/workgroup (compile time only)
; SGPRBlocks: 4
; VGPRBlocks: 29
; NumSGPRsForWavesPerEU: 38
; NumVGPRsForWavesPerEU: 236
; AccumOffset: 236
; Occupancy: 2
; WaveLimiterHint : 1
; COMPUTE_PGM_RSRC2:SCRATCH_EN: 0
; COMPUTE_PGM_RSRC2:USER_SGPR: 2
; COMPUTE_PGM_RSRC2:TRAP_HANDLER: 0
; COMPUTE_PGM_RSRC2:TGID_X_EN: 1
; COMPUTE_PGM_RSRC2:TGID_Y_EN: 0
; COMPUTE_PGM_RSRC2:TGID_Z_EN: 0
; COMPUTE_PGM_RSRC2:TIDIG_COMP_CNT: 0
; COMPUTE_PGM_RSRC3_GFX90A:ACCUM_OFFSET: 58
; COMPUTE_PGM_RSRC3_GFX90A:TG_SPLIT: 0
	.text
	.p2alignl 6, 3212836864
	.fill 256, 4, 3212836864
	.type	__hip_cuid_eb738700e3b43e86,@object ; @__hip_cuid_eb738700e3b43e86
	.section	.bss,"aw",@nobits
	.globl	__hip_cuid_eb738700e3b43e86
__hip_cuid_eb738700e3b43e86:
	.byte	0                               ; 0x0
	.size	__hip_cuid_eb738700e3b43e86, 1

	.ident	"AMD clang version 19.0.0git (https://github.com/RadeonOpenCompute/llvm-project roc-6.4.0 25133 c7fe45cf4b819c5991fe208aaa96edf142730f1d)"
	.section	".note.GNU-stack","",@progbits
	.addrsig
	.addrsig_sym __hip_cuid_eb738700e3b43e86
	.amdgpu_metadata
---
amdhsa.kernels:
  - .agpr_count:     0
    .args:
      - .actual_access:  read_only
        .address_space:  global
        .offset:         0
        .size:           8
        .value_kind:     global_buffer
      - .offset:         8
        .size:           8
        .value_kind:     by_value
      - .actual_access:  read_only
        .address_space:  global
        .offset:         16
        .size:           8
        .value_kind:     global_buffer
      - .actual_access:  read_only
        .address_space:  global
        .offset:         24
        .size:           8
        .value_kind:     global_buffer
      - .actual_access:  read_only
        .address_space:  global
        .offset:         32
        .size:           8
        .value_kind:     global_buffer
      - .offset:         40
        .size:           8
        .value_kind:     by_value
      - .actual_access:  read_only
        .address_space:  global
        .offset:         48
        .size:           8
        .value_kind:     global_buffer
      - .actual_access:  read_only
        .address_space:  global
        .offset:         56
        .size:           8
        .value_kind:     global_buffer
      - .offset:         64
        .size:           4
        .value_kind:     by_value
      - .actual_access:  read_only
        .address_space:  global
        .offset:         72
        .size:           8
        .value_kind:     global_buffer
      - .actual_access:  read_only
        .address_space:  global
        .offset:         80
        .size:           8
        .value_kind:     global_buffer
      - .actual_access:  read_only
        .address_space:  global
        .offset:         88
        .size:           8
        .value_kind:     global_buffer
      - .actual_access:  write_only
        .address_space:  global
        .offset:         96
        .size:           8
        .value_kind:     global_buffer
    .group_segment_fixed_size: 0
    .kernarg_segment_align: 8
    .kernarg_segment_size: 104
    .language:       OpenCL C
    .language_version:
      - 2
      - 0
    .max_flat_workgroup_size: 90
    .name:           fft_rtc_fwd_len2700_factors_3_10_10_3_3_wgs_90_tpt_90_halfLds_dp_op_CI_CI_sbrr_dirReg
    .private_segment_fixed_size: 0
    .sgpr_count:     38
    .sgpr_spill_count: 0
    .symbol:         fft_rtc_fwd_len2700_factors_3_10_10_3_3_wgs_90_tpt_90_halfLds_dp_op_CI_CI_sbrr_dirReg.kd
    .uniform_work_group_size: 1
    .uses_dynamic_stack: false
    .vgpr_count:     236
    .vgpr_spill_count: 0
    .wavefront_size: 64
amdhsa.target:   amdgcn-amd-amdhsa--gfx950
amdhsa.version:
  - 1
  - 2
...

	.end_amdgpu_metadata
